;; amdgpu-corpus repo=ROCm/rocFFT kind=compiled arch=gfx1100 opt=O3
	.text
	.amdgcn_target "amdgcn-amd-amdhsa--gfx1100"
	.amdhsa_code_object_version 6
	.protected	bluestein_single_back_len768_dim1_sp_op_CI_CI ; -- Begin function bluestein_single_back_len768_dim1_sp_op_CI_CI
	.globl	bluestein_single_back_len768_dim1_sp_op_CI_CI
	.p2align	8
	.type	bluestein_single_back_len768_dim1_sp_op_CI_CI,@function
bluestein_single_back_len768_dim1_sp_op_CI_CI: ; @bluestein_single_back_len768_dim1_sp_op_CI_CI
; %bb.0:
	s_load_b128 s[16:19], s[0:1], 0x28
	v_mul_u32_u24_e32 v1, 0x556, v0
	s_mov_b32 s2, exec_lo
	v_mov_b32_e32 v65, 0
	s_delay_alu instid0(VALU_DEP_2) | instskip(NEXT) | instid1(VALU_DEP_1)
	v_lshrrev_b32_e32 v1, 16, v1
	v_add_nc_u32_e32 v64, s15, v1
	s_waitcnt lgkmcnt(0)
	s_delay_alu instid0(VALU_DEP_1)
	v_cmpx_gt_u64_e64 s[16:17], v[64:65]
	s_cbranch_execz .LBB0_10
; %bb.1:
	s_clause 0x1
	s_load_b128 s[4:7], s[0:1], 0x18
	s_load_b128 s[8:11], s[0:1], 0x0
	v_mul_lo_u16 v1, v1, 48
	s_delay_alu instid0(VALU_DEP_1) | instskip(NEXT) | instid1(VALU_DEP_1)
	v_sub_nc_u16 v32, v0, v1
	v_and_b32_e32 v110, 0xffff, v32
	v_lshlrev_b16 v42, 4, v32
	s_waitcnt lgkmcnt(0)
	s_load_b128 s[12:15], s[4:5], 0x0
	s_waitcnt lgkmcnt(0)
	v_mad_u64_u32 v[0:1], null, s14, v64, 0
	v_mad_u64_u32 v[2:3], null, s12, v110, 0
	s_mul_hi_u32 s3, s12, 0x180
	s_mul_i32 s4, s12, 0x180
	s_mul_i32 s5, s13, 0x300
	s_mul_hi_u32 s14, s12, 0x300
	s_delay_alu instid0(SALU_CYCLE_1) | instskip(NEXT) | instid1(VALU_DEP_1)
	s_add_i32 s14, s14, s5
	v_mad_u64_u32 v[10:11], null, s15, v64, v[1:2]
	s_delay_alu instid0(VALU_DEP_1)
	v_mov_b32_e32 v1, v10
	v_or_b32_e32 v109, 0xc0, v110
	v_or_b32_e32 v107, 0x180, v110
	;; [unrolled: 1-line block ×3, first 2 shown]
	v_lshlrev_b32_e32 v111, 3, v110
	v_lshlrev_b64 v[0:1], 3, v[0:1]
	v_mad_u64_u32 v[4:5], null, s12, v109, 0
	v_mad_u64_u32 v[6:7], null, s12, v107, 0
	;; [unrolled: 1-line block ×3, first 2 shown]
	s_delay_alu instid0(VALU_DEP_4) | instskip(NEXT) | instid1(VALU_DEP_4)
	v_add_co_u32 v16, vcc_lo, s18, v0
	v_mad_u64_u32 v[11:12], null, s13, v110, v[3:4]
	s_delay_alu instid0(VALU_DEP_4) | instskip(NEXT) | instid1(VALU_DEP_4)
	v_mad_u64_u32 v[12:13], null, s13, v109, v[5:6]
	v_mad_u64_u32 v[13:14], null, s13, v107, v[7:8]
	;; [unrolled: 1-line block ×3, first 2 shown]
	s_delay_alu instid0(VALU_DEP_4)
	v_mov_b32_e32 v3, v11
	v_add_co_ci_u32_e32 v17, vcc_lo, s19, v1, vcc_lo
	v_mov_b32_e32 v5, v12
	s_clause 0x4
	global_load_b64 v[95:96], v111, s[8:9]
	global_load_b64 v[93:94], v111, s[8:9] offset:384
	global_load_b64 v[91:92], v111, s[8:9] offset:768
	;; [unrolled: 1-line block ×4, first 2 shown]
	v_lshlrev_b64 v[2:3], 3, v[2:3]
	v_mov_b32_e32 v7, v13
	v_mov_b32_e32 v9, v14
	v_add_co_u32 v26, s2, s8, v111
	v_lshlrev_b64 v[4:5], 3, v[4:5]
	v_add_co_u32 v2, vcc_lo, v16, v2
	v_add_co_ci_u32_e32 v3, vcc_lo, v17, v3, vcc_lo
	v_add_co_ci_u32_e64 v27, null, s9, 0, s2
	s_mul_i32 s2, s13, 0x180
	v_lshlrev_b64 v[0:1], 3, v[6:7]
	s_add_i32 s3, s3, s2
	v_lshlrev_b64 v[6:7], 3, v[8:9]
	v_add_co_u32 v8, vcc_lo, v2, s4
	v_add_co_ci_u32_e32 v9, vcc_lo, s3, v3, vcc_lo
	v_add_co_u32 v4, vcc_lo, v16, v4
	v_add_co_ci_u32_e32 v5, vcc_lo, v17, v5, vcc_lo
	s_delay_alu instid0(VALU_DEP_4) | instskip(NEXT) | instid1(VALU_DEP_4)
	v_add_co_u32 v10, vcc_lo, v8, s4
	v_add_co_ci_u32_e32 v11, vcc_lo, s3, v9, vcc_lo
	v_add_co_u32 v0, vcc_lo, v16, v0
	v_add_co_ci_u32_e32 v1, vcc_lo, v17, v1, vcc_lo
	s_delay_alu instid0(VALU_DEP_4) | instskip(NEXT) | instid1(VALU_DEP_4)
	v_add_co_u32 v12, vcc_lo, v10, s4
	v_add_co_ci_u32_e32 v13, vcc_lo, s3, v11, vcc_lo
	v_add_co_u32 v6, vcc_lo, v16, v6
	s_mulk_i32 s12, 0x300
	v_add_co_ci_u32_e32 v7, vcc_lo, v17, v7, vcc_lo
	s_clause 0x4
	global_load_b64 v[4:5], v[4:5], off
	global_load_b64 v[2:3], v[2:3], off
	;; [unrolled: 1-line block ×5, first 2 shown]
	v_add_co_u32 v12, vcc_lo, v12, s12
	v_add_co_ci_u32_e32 v13, vcc_lo, s14, v13, vcc_lo
	v_lshlrev_b32_e32 v39, 3, v108
	s_delay_alu instid0(VALU_DEP_3) | instskip(NEXT) | instid1(VALU_DEP_3)
	v_add_co_u32 v16, vcc_lo, v12, s4
	v_add_co_ci_u32_e32 v17, vcc_lo, s3, v13, vcc_lo
	global_load_b64 v[0:1], v[0:1], off
	global_load_b64 v[75:76], v111, s[8:9] offset:3072
	global_load_b64 v[6:7], v[6:7], off
	global_load_b64 v[65:66], v39, s[8:9]
	v_add_co_u32 v18, vcc_lo, v16, s4
	v_add_co_ci_u32_e32 v19, vcc_lo, s3, v17, vcc_lo
	global_load_b64 v[12:13], v[12:13], off
	v_add_co_u32 v20, vcc_lo, v18, s12
	v_add_co_ci_u32_e32 v21, vcc_lo, s14, v19, vcc_lo
	global_load_b64 v[16:17], v[16:17], off
	global_load_b64 v[18:19], v[18:19], off
	s_clause 0x2
	global_load_b64 v[87:88], v111, s[8:9] offset:1920
	global_load_b64 v[85:86], v111, s[8:9] offset:2304
	;; [unrolled: 1-line block ×3, first 2 shown]
	global_load_b64 v[22:23], v[20:21], off
	v_add_co_u32 v20, vcc_lo, v20, s4
	v_add_co_ci_u32_e32 v21, vcc_lo, s3, v21, vcc_lo
	global_load_b64 v[77:78], v111, s[8:9] offset:3456
	v_add_co_u32 v24, vcc_lo, v20, s4
	v_add_co_ci_u32_e32 v25, vcc_lo, s3, v21, vcc_lo
	v_add_co_u32 v26, vcc_lo, 0x1000, v26
	v_add_co_ci_u32_e32 v27, vcc_lo, 0, v27, vcc_lo
	s_delay_alu instid0(VALU_DEP_4) | instskip(NEXT) | instid1(VALU_DEP_4)
	v_add_co_u32 v28, vcc_lo, v24, s12
	v_add_co_ci_u32_e32 v29, vcc_lo, s14, v25, vcc_lo
	global_load_b64 v[20:21], v[20:21], off
	global_load_b64 v[79:80], v111, s[8:9] offset:3840
	global_load_b64 v[24:25], v[24:25], off
	global_load_b64 v[73:74], v[26:27], off offset:128
	global_load_b64 v[30:31], v[28:29], off
	v_add_co_u32 v28, vcc_lo, v28, s4
	v_add_co_ci_u32_e32 v29, vcc_lo, s3, v29, vcc_lo
	global_load_b64 v[67:68], v[26:27], off offset:896
	v_add_co_u32 v33, vcc_lo, v28, s4
	v_add_co_ci_u32_e32 v34, vcc_lo, s3, v29, vcc_lo
	global_load_b64 v[28:29], v[28:29], off
	s_clause 0x1
	global_load_b64 v[69:70], v[26:27], off offset:1280
	global_load_b64 v[71:72], v[26:27], off offset:1664
	global_load_b64 v[26:27], v[33:34], off
	s_load_b128 s[4:7], s[6:7], 0x0
	s_load_b64 s[2:3], s[0:1], 0x38
	v_cmp_gt_u16_e32 vcc_lo, 16, v32
                                        ; kill: def $vgpr32 killed $sgpr0 killed $exec
	s_waitcnt vmcnt(26)
	v_mul_f32_e32 v36, v4, v84
	s_waitcnt vmcnt(25)
	v_mul_f32_e32 v33, v3, v96
	v_dual_mul_f32 v34, v2, v96 :: v_dual_add_nc_u32 v45, 0x1000, v111
	v_add_nc_u32_e32 v44, 0xc00, v111
	v_fma_f32 v36, v5, v83, -v36
	s_waitcnt vmcnt(24)
	v_dual_fmac_f32 v33, v2, v95 :: v_dual_mul_f32 v2, v9, v94
	v_fma_f32 v34, v3, v95, -v34
	s_waitcnt vmcnt(20)
	v_mul_f32_e32 v37, v1, v76
	v_mul_f32_e32 v38, v0, v76
	s_waitcnt vmcnt(18)
	v_dual_mul_f32 v40, v7, v66 :: v_dual_add_nc_u32 v43, 0x800, v111
	v_mul_f32_e32 v41, v6, v66
	v_dual_fmac_f32 v37, v0, v75 :: v_dual_mul_f32 v0, v11, v92
	v_mul_f32_e32 v35, v5, v84
	v_fma_f32 v38, v1, v75, -v38
	v_fmac_f32_e32 v40, v6, v65
	v_fmac_f32_e32 v2, v8, v93
	;; [unrolled: 1-line block ×3, first 2 shown]
	v_dual_fmac_f32 v35, v4, v83 :: v_dual_mul_f32 v4, v15, v90
	s_waitcnt vmcnt(14)
	v_dual_mul_f32 v3, v8, v94 :: v_dual_mul_f32 v6, v13, v88
	s_waitcnt vmcnt(13)
	v_dual_mul_f32 v1, v10, v92 :: v_dual_mul_f32 v8, v17, v86
	v_mul_f32_e32 v5, v14, v90
	v_fmac_f32_e32 v4, v14, v89
	v_fma_f32 v3, v9, v93, -v3
	v_fmac_f32_e32 v6, v12, v87
	v_fmac_f32_e32 v8, v16, v85
	v_fma_f32 v1, v11, v91, -v1
	v_fma_f32 v5, v15, v89, -v5
	;; [unrolled: 1-line block ×3, first 2 shown]
	ds_store_2addr_b64 v111, v[33:34], v[2:3] offset1:48
	ds_store_2addr_b64 v111, v[0:1], v[4:5] offset0:96 offset1:144
	s_waitcnt vmcnt(12)
	v_dual_mul_f32 v0, v19, v82 :: v_dual_mul_f32 v7, v12, v88
	s_waitcnt vmcnt(8)
	v_dual_mul_f32 v3, v18, v82 :: v_dual_mul_f32 v4, v21, v80
	v_mul_f32_e32 v2, v23, v78
	v_mul_f32_e32 v1, v16, v86
	;; [unrolled: 1-line block ×3, first 2 shown]
	v_fmac_f32_e32 v0, v18, v81
	v_fmac_f32_e32 v4, v20, v79
	v_fma_f32 v7, v13, v87, -v7
	v_fmac_f32_e32 v2, v22, v77
	v_fma_f32 v9, v17, v85, -v1
	v_fma_f32 v1, v19, v81, -v3
	;; [unrolled: 1-line block ×3, first 2 shown]
	ds_store_2addr_b64 v111, v[35:36], v[6:7] offset0:192 offset1:240
	s_waitcnt vmcnt(6)
	v_dual_mul_f32 v5, v20, v80 :: v_dual_mul_f32 v6, v25, v74
	s_waitcnt vmcnt(4)
	v_dual_mul_f32 v7, v24, v74 :: v_dual_mul_f32 v10, v31, v68
	;; [unrolled: 2-line block ×3, first 2 shown]
	s_waitcnt vmcnt(0)
	v_dual_mul_f32 v15, v26, v72 :: v_dual_fmac_f32 v6, v24, v73
	v_dual_fmac_f32 v10, v30, v67 :: v_dual_mul_f32 v13, v28, v70
	v_dual_mul_f32 v14, v27, v72 :: v_dual_and_b32 v33, 0xffff, v42
	v_fma_f32 v5, v21, v79, -v5
	v_fma_f32 v7, v25, v73, -v7
	;; [unrolled: 1-line block ×3, first 2 shown]
	v_fmac_f32_e32 v12, v28, v69
	v_fma_f32 v13, v29, v69, -v13
	v_fmac_f32_e32 v14, v26, v71
	v_fma_f32 v15, v27, v71, -v15
	ds_store_2addr_b64 v43, v[8:9], v[0:1] offset0:32 offset1:80
	ds_store_2addr_b64 v43, v[37:38], v[2:3] offset0:128 offset1:176
	;; [unrolled: 1-line block ×5, first 2 shown]
	s_waitcnt lgkmcnt(0)
	s_barrier
	buffer_gl0_inv
	ds_load_2addr_b64 v[0:3], v111 offset1:48
	ds_load_2addr_b64 v[4:7], v43 offset0:128 offset1:176
	ds_load_2addr_b64 v[8:11], v111 offset0:192 offset1:240
	;; [unrolled: 1-line block ×7, first 2 shown]
	v_lshlrev_b32_e32 v38, 3, v33
	s_waitcnt lgkmcnt(0)
	s_barrier
	buffer_gl0_inv
	v_dual_sub_f32 v4, v0, v4 :: v_dual_sub_f32 v5, v1, v5
	v_dual_sub_f32 v13, v9, v13 :: v_dual_sub_f32 v12, v8, v12
	;; [unrolled: 1-line block ×5, first 2 shown]
	v_sub_f32_e32 v31, v27, v31
	v_dual_sub_f32 v7, v3, v7 :: v_dual_sub_f32 v14, v10, v14
	v_dual_sub_f32 v15, v11, v15 :: v_dual_sub_f32 v22, v18, v22
	v_fma_f32 v1, v1, 2.0, -v5
	v_fma_f32 v9, v9, 2.0, -v13
	v_sub_f32_e32 v30, v26, v30
	v_fma_f32 v0, v0, 2.0, -v4
	v_fma_f32 v8, v8, 2.0, -v12
	;; [unrolled: 1-line block ×3, first 2 shown]
	v_sub_f32_e32 v9, v1, v9
	v_fma_f32 v17, v17, 2.0, -v21
	v_fma_f32 v24, v24, 2.0, -v28
	;; [unrolled: 1-line block ×9, first 2 shown]
	v_sub_f32_e32 v13, v4, v13
	v_fma_f32 v10, v10, 2.0, -v14
	v_dual_add_f32 v12, v5, v12 :: v_dual_sub_f32 v15, v6, v15
	v_sub_f32_e32 v29, v20, v29
	v_fma_f32 v18, v18, 2.0, -v22
	v_dual_add_f32 v28, v21, v28 :: v_dual_sub_f32 v31, v22, v31
	v_dual_add_f32 v14, v7, v14 :: v_dual_sub_f32 v25, v17, v25
	s_delay_alu instid0(VALU_DEP_4)
	v_dual_add_f32 v30, v23, v30 :: v_dual_fmamk_f32 v33, v29, 0x3f3504f3, v13
	v_dual_sub_f32 v8, v0, v8 :: v_dual_sub_f32 v11, v3, v11
	v_fma_f32 v4, v4, 2.0, -v13
	v_fma_f32 v5, v5, 2.0, -v12
	v_dual_sub_f32 v24, v16, v24 :: v_dual_sub_f32 v27, v19, v27
	v_fma_f32 v20, v20, 2.0, -v29
	v_fma_f32 v21, v21, 2.0, -v28
	v_dual_sub_f32 v10, v2, v10 :: v_dual_fmamk_f32 v35, v31, 0x3f3504f3, v15
	v_fma_f32 v6, v6, 2.0, -v15
	v_fma_f32 v7, v7, 2.0, -v14
	v_sub_f32_e32 v26, v18, v26
	v_fma_f32 v22, v22, 2.0, -v31
	v_fma_f32 v23, v23, 2.0, -v30
	v_fmamk_f32 v34, v28, 0x3f3504f3, v12
	v_fmamk_f32 v36, v30, 0x3f3504f3, v14
	v_fma_f32 v37, v0, 2.0, -v8
	v_fma_f32 v40, v1, 2.0, -v9
	v_fma_f32 v0, v16, 2.0, -v24
	v_fma_f32 v1, v17, 2.0, -v25
	v_sub_f32_e32 v25, v8, v25
	v_fma_f32 v16, v2, 2.0, -v10
	v_fma_f32 v17, v3, 2.0, -v11
	v_fma_f32 v3, v19, 2.0, -v27
	v_fmamk_f32 v19, v21, 0xbf3504f3, v5
	v_fma_f32 v2, v18, 2.0, -v26
	v_dual_fmamk_f32 v18, v20, 0xbf3504f3, v4 :: v_dual_fmac_f32 v33, 0xbf3504f3, v28
	v_add_f32_e32 v24, v9, v24
	v_dual_fmamk_f32 v28, v22, 0xbf3504f3, v6 :: v_dual_fmac_f32 v35, 0xbf3504f3, v30
	v_dual_sub_f32 v27, v10, v27 :: v_dual_fmac_f32 v34, 0x3f3504f3, v29
	v_fmac_f32_e32 v19, 0x3f3504f3, v20
	v_fmamk_f32 v29, v23, 0xbf3504f3, v7
	v_add_f32_e32 v26, v11, v26
	v_fmac_f32_e32 v36, 0x3f3504f3, v31
	v_dual_sub_f32 v30, v37, v0 :: v_dual_sub_f32 v31, v40, v1
	s_delay_alu instid0(VALU_DEP_4)
	v_fmac_f32_e32 v29, 0x3f3504f3, v22
	v_fmac_f32_e32 v18, 0xbf3504f3, v21
	v_fma_f32 v42, v9, 2.0, -v24
	v_dual_sub_f32 v9, v16, v2 :: v_dual_fmac_f32 v28, 0xbf3504f3, v23
	v_fma_f32 v41, v8, 2.0, -v25
	v_dual_sub_f32 v8, v17, v3 :: v_dual_fmamk_f32 v1, v26, 0x3f3504f3, v24
	v_fma_f32 v44, v13, 2.0, -v33
	v_fma_f32 v46, v12, 2.0, -v34
	;; [unrolled: 1-line block ×10, first 2 shown]
	v_add_f32_e32 v9, v31, v9
	v_fma_f32 v49, v6, 2.0, -v28
	v_dual_fmamk_f32 v10, v28, 0x3ec3ef15, v18 :: v_dual_fmamk_f32 v11, v29, 0x3ec3ef15, v19
	v_dual_fmamk_f32 v2, v35, 0x3f6c835e, v33 :: v_dual_fmamk_f32 v3, v36, 0x3f6c835e, v34
	v_fma_f32 v40, v40, 2.0, -v31
	v_fma_f32 v13, v17, 2.0, -v8
	v_fmamk_f32 v0, v27, 0x3f3504f3, v25
	v_fma_f32 v37, v37, 2.0, -v30
	v_dual_fmamk_f32 v4, v20, 0xbf3504f3, v41 :: v_dual_fmamk_f32 v5, v21, 0xbf3504f3, v42
	v_fmamk_f32 v6, v22, 0xbec3ef15, v44
	v_dual_fmamk_f32 v7, v23, 0xbec3ef15, v46 :: v_dual_sub_f32 v8, v30, v8
	v_dual_fmamk_f32 v14, v49, 0xbf6c835e, v47 :: v_dual_fmamk_f32 v15, v50, 0xbf6c835e, v48
	v_fmac_f32_e32 v10, 0xbf6c835e, v29
	v_fmac_f32_e32 v11, 0x3f6c835e, v28
	v_dual_fmac_f32 v1, 0x3f3504f3, v27 :: v_dual_sub_f32 v12, v37, v12
	v_fmac_f32_e32 v2, 0xbec3ef15, v36
	v_fmac_f32_e32 v3, 0x3ec3ef15, v35
	v_dual_sub_f32 v13, v40, v13 :: v_dual_fmac_f32 v0, 0xbf3504f3, v26
	v_fmac_f32_e32 v4, 0xbf3504f3, v21
	v_fmac_f32_e32 v5, 0x3f3504f3, v20
	;; [unrolled: 1-line block ×6, first 2 shown]
	v_fma_f32 v16, v30, 2.0, -v8
	v_fma_f32 v17, v31, 2.0, -v9
	;; [unrolled: 1-line block ×16, first 2 shown]
	ds_store_b128 v38, v[8:11] offset:96
	ds_store_b128 v38, v[0:3] offset:112
	;; [unrolled: 1-line block ×6, first 2 shown]
	ds_store_b128 v38, v[24:27]
	ds_store_b128 v38, v[28:31] offset:16
	s_waitcnt lgkmcnt(0)
	s_barrier
	buffer_gl0_inv
	ds_load_2addr_b64 v[4:7], v111 offset1:48
	ds_load_2addr_b64 v[16:19], v45 offset1:48
	ds_load_2addr_b64 v[20:23], v43 offset0:48 offset1:96
	ds_load_2addr_b64 v[12:15], v111 offset0:96 offset1:144
	;; [unrolled: 1-line block ×4, first 2 shown]
	ds_load_2addr_stride64_b64 v[8:11], v111 offset0:3 offset1:4
	ds_load_b64 v[0:1], v111 offset:5632
                                        ; implicit-def: $vgpr34
                                        ; implicit-def: $vgpr36
	s_and_saveexec_b32 s0, vcc_lo
	s_cbranch_execz .LBB0_3
; %bb.2:
	v_add_nc_u32_e32 v2, 0x180, v111
	ds_load_2addr_stride64_b64 v[32:35], v2 offset0:3 offset1:7
	ds_load_b64 v[36:37], v111 offset:6016
	s_waitcnt lgkmcnt(1)
	v_dual_mov_b32 v3, v33 :: v_dual_mov_b32 v2, v32
.LBB0_3:
	s_or_b32 exec_lo, exec_lo, s0
	v_lshlrev_b32_e32 v32, 4, v110
	v_lshrrev_b32_e32 v43, 4, v109
	s_delay_alu instid0(VALU_DEP_2) | instskip(NEXT) | instid1(VALU_DEP_2)
	v_and_b32_e32 v32, 0xf0, v32
	v_mul_u32_u24_e32 v43, 48, v43
	s_clause 0x1
	global_load_b64 v[97:98], v32, s[10:11]
	global_load_b64 v[99:100], v32, s[10:11] offset:8
	v_add_nc_u32_e32 v41, 0x60, v110
	v_and_b32_e32 v33, 15, v110
	v_add_nc_u32_e32 v42, 0x90, v110
	s_delay_alu instid0(VALU_DEP_2) | instskip(SKIP_1) | instid1(VALU_DEP_1)
	v_lshlrev_b32_e32 v40, 4, v33
	v_or_b32_e32 v43, v43, v33
	v_lshlrev_b32_e32 v113, 3, v43
	s_waitcnt vmcnt(0) lgkmcnt(5)
	v_dual_mul_f32 v45, v20, v98 :: v_dual_mul_f32 v46, v19, v100
	v_lshrrev_b32_e32 v41, 4, v41
	s_waitcnt lgkmcnt(3)
	v_mul_f32_e32 v51, v24, v100
	v_lshrrev_b32_e32 v42, 4, v42
	s_waitcnt lgkmcnt(2)
	v_dual_mul_f32 v52, v29, v98 :: v_dual_mul_f32 v55, v26, v100
	v_mul_u32_u24_e32 v41, 48, v41
	v_mul_f32_e32 v43, v16, v100
	v_mul_u32_u24_e32 v42, 48, v42
	s_waitcnt lgkmcnt(0)
	v_dual_mul_f32 v56, v31, v98 :: v_dual_mul_f32 v59, v0, v100
	v_or_b32_e32 v41, v41, v33
	v_dual_mul_f32 v50, v25, v100 :: v_dual_mul_f32 v57, v30, v98
	v_mul_f32_e32 v47, v18, v100
	s_delay_alu instid0(VALU_DEP_3)
	v_dual_mul_f32 v53, v28, v98 :: v_dual_lshlrev_b32 v116, 3, v41
	v_mul_f32_e32 v41, v10, v98
	s_clause 0x2
	global_load_b64 v[101:102], v32, s[10:11] offset:4
	global_load_b32 v112, v32, s[10:11] offset:12
	global_load_b32 v114, v40, s[10:11]
	v_add_nc_u32_e32 v40, 48, v110
	v_lshrrev_b32_e32 v32, 4, v110
	v_mul_f32_e32 v54, v27, v100
	v_mul_f32_e32 v58, v1, v100
	s_waitcnt vmcnt(0)
	v_lshrrev_b32_e32 v40, 4, v40
	v_mul_u32_u24_e32 v32, 48, v32
	s_barrier
	buffer_gl0_inv
	v_mul_f32_e32 v49, v22, v98
	v_mul_u32_u24_e32 v40, 48, v40
	v_or_b32_e32 v32, v32, v33
	v_mul_f32_e32 v44, v21, v98
	v_mul_f32_e32 v48, v23, v98
	s_delay_alu instid0(VALU_DEP_4) | instskip(SKIP_3) | instid1(VALU_DEP_4)
	v_or_b32_e32 v40, v40, v33
	v_or_b32_e32 v33, v42, v33
	v_mul_f32_e32 v42, v17, v100
	v_lshlrev_b32_e32 v118, 3, v32
	v_lshlrev_b32_e32 v117, 3, v40
	s_delay_alu instid0(VALU_DEP_4)
	v_dual_mul_f32 v40, v11, v98 :: v_dual_lshlrev_b32 v115, 3, v33
	v_dual_mul_f32 v60, v35, v101 :: v_dual_mul_f32 v61, v37, v112
	v_dual_mul_f32 v33, v34, v101 :: v_dual_mul_f32 v32, v36, v112
	v_fmac_f32_e32 v43, v17, v102
	v_fmac_f32_e32 v41, v11, v114
	v_fma_f32 v11, v16, v102, -v42
	v_fma_f32 v16, v20, v114, -v44
	v_fma_f32 v20, v28, v114, -v52
	v_fma_f32 v10, v10, v114, -v40
	v_fmac_f32_e32 v45, v21, v114
	v_fma_f32 v17, v18, v102, -v46
	v_dual_fmac_f32 v47, v19, v102 :: v_dual_fmac_f32 v32, v37, v99
	v_fma_f32 v18, v22, v114, -v48
	v_fmac_f32_e32 v49, v23, v114
	v_dual_fmac_f32 v53, v29, v114 :: v_dual_add_f32 v48, v14, v20
	v_fma_f32 v22, v30, v114, -v56
	v_fma_f32 v23, v0, v102, -v58
	s_delay_alu instid0(VALU_DEP_3)
	v_dual_fmac_f32 v59, v1, v102 :: v_dual_add_f32 v52, v15, v53
	v_fma_f32 v1, v34, v97, -v60
	v_fmac_f32_e32 v33, v35, v97
	v_fma_f32 v0, v36, v99, -v61
	v_fma_f32 v19, v24, v102, -v50
	v_add_f32_e32 v24, v4, v10
	v_fmac_f32_e32 v51, v25, v102
	v_fma_f32 v21, v26, v102, -v54
	v_dual_fmac_f32 v55, v27, v102 :: v_dual_add_f32 v28, v41, v43
	v_dual_add_f32 v25, v10, v11 :: v_dual_add_f32 v40, v12, v18
	v_dual_add_f32 v27, v5, v41 :: v_dual_add_f32 v56, v8, v22
	v_dual_add_f32 v30, v6, v16 :: v_dual_fmac_f32 v57, v31, v114
	v_dual_sub_f32 v34, v45, v47 :: v_dual_add_f32 v31, v16, v17
	v_add_f32_e32 v36, v45, v47
	v_add_f32_e32 v63, v1, v0
	;; [unrolled: 1-line block ×3, first 2 shown]
	v_sub_f32_e32 v26, v41, v43
	v_dual_add_f32 v41, v18, v19 :: v_dual_sub_f32 v54, v20, v21
	v_dual_sub_f32 v46, v18, v19 :: v_dual_add_f32 v35, v7, v45
	v_sub_f32_e32 v42, v49, v51
	v_add_f32_e32 v45, v49, v51
	v_dual_sub_f32 v29, v10, v11 :: v_dual_add_f32 v44, v13, v49
	v_dual_sub_f32 v37, v16, v17 :: v_dual_sub_f32 v50, v53, v55
	v_dual_add_f32 v49, v20, v21 :: v_dual_add_f32 v58, v22, v23
	v_dual_add_f32 v53, v53, v55 :: v_dual_add_f32 v20, v48, v21
	v_dual_sub_f32 v60, v57, v59 :: v_dual_fmac_f32 v7, -0.5, v36
	v_dual_add_f32 v61, v9, v57 :: v_dual_sub_f32 v62, v22, v23
	v_dual_sub_f32 v103, v33, v32 :: v_dual_add_f32 v18, v40, v19
	v_dual_sub_f32 v119, v1, v0 :: v_dual_add_f32 v22, v56, v23
	v_add_f32_e32 v10, v24, v11
	v_fma_f32 v4, -0.5, v25, v4
	v_add_f32_e32 v57, v57, v59
	v_add_f32_e32 v11, v27, v43
	v_fma_f32 v5, -0.5, v28, v5
	v_fma_f32 v105, -0.5, v63, v2
	v_fmamk_f32 v24, v26, 0x3f5db3d7, v4
	v_fma_f32 v106, -0.5, v104, v3
	v_fma_f32 v6, -0.5, v31, v6
	v_add_f32_e32 v16, v30, v17
	v_fma_f32 v12, -0.5, v41, v12
	v_fma_f32 v13, -0.5, v45, v13
	;; [unrolled: 1-line block ×3, first 2 shown]
	v_fmac_f32_e32 v15, -0.5, v53
	v_fma_f32 v8, -0.5, v58, v8
	v_dual_fmamk_f32 v28, v42, 0x3f5db3d7, v12 :: v_dual_fmac_f32 v9, -0.5, v57
	v_fmamk_f32 v25, v29, 0xbf5db3d7, v5
	v_fmamk_f32 v27, v37, 0xbf5db3d7, v7
	v_fmac_f32_e32 v7, 0x3f5db3d7, v37
	v_fmamk_f32 v30, v103, 0x3f5db3d7, v105
	v_fmac_f32_e32 v105, 0xbf5db3d7, v103
	;; [unrolled: 2-line block ×3, first 2 shown]
	v_dual_add_f32 v17, v35, v47 :: v_dual_fmac_f32 v4, 0xbf5db3d7, v26
	v_dual_fmac_f32 v5, 0x3f5db3d7, v29 :: v_dual_fmamk_f32 v36, v60, 0x3f5db3d7, v8
	v_dual_add_f32 v19, v44, v51 :: v_dual_fmamk_f32 v26, v34, 0x3f5db3d7, v6
	v_dual_add_f32 v21, v52, v55 :: v_dual_fmac_f32 v6, 0xbf5db3d7, v34
	v_fmamk_f32 v29, v46, 0xbf5db3d7, v13
	v_dual_add_f32 v23, v61, v59 :: v_dual_fmac_f32 v12, 0xbf5db3d7, v42
	v_dual_fmac_f32 v13, 0x3f5db3d7, v46 :: v_dual_fmamk_f32 v34, v50, 0x3f5db3d7, v14
	v_dual_fmac_f32 v14, 0xbf5db3d7, v50 :: v_dual_fmamk_f32 v35, v54, 0xbf5db3d7, v15
	v_fmac_f32_e32 v15, 0x3f5db3d7, v54
	v_dual_fmac_f32 v8, 0xbf5db3d7, v60 :: v_dual_fmamk_f32 v37, v62, 0xbf5db3d7, v9
	v_fmac_f32_e32 v9, 0x3f5db3d7, v62
	ds_store_2addr_b64 v118, v[10:11], v[24:25] offset1:16
	ds_store_b64 v118, v[4:5] offset:256
	ds_store_2addr_b64 v117, v[16:17], v[26:27] offset1:16
	ds_store_b64 v117, v[6:7] offset:256
	;; [unrolled: 2-line block ×5, first 2 shown]
	s_and_saveexec_b32 s0, vcc_lo
	s_cbranch_execz .LBB0_5
; %bb.4:
	v_dual_add_f32 v3, v3, v33 :: v_dual_add_nc_u32 v4, 0x1000, v111
	s_delay_alu instid0(VALU_DEP_1) | instskip(NEXT) | instid1(VALU_DEP_1)
	v_dual_add_f32 v2, v2, v1 :: v_dual_add_f32 v1, v3, v32
	v_add_f32_e32 v0, v2, v0
	ds_store_2addr_b64 v4, v[0:1], v[30:31] offset0:208 offset1:224
	ds_store_b64 v111, v[105:106] offset:6016
.LBB0_5:
	s_or_b32 exec_lo, exec_lo, s0
	v_mad_u64_u32 v[28:29], null, 0x78, v110, s[10:11]
	s_waitcnt lgkmcnt(0)
	s_barrier
	buffer_gl0_inv
	s_add_u32 s8, s8, 0x1800
	s_addc_u32 s9, s9, 0
	s_clause 0x7
	global_load_b128 v[24:27], v[28:29], off offset:256
	global_load_b128 v[16:19], v[28:29], off offset:272
	;; [unrolled: 1-line block ×7, first 2 shown]
	global_load_b64 v[103:104], v[28:29], off offset:368
	ds_load_2addr_b64 v[33:36], v111 offset1:48
	ds_load_2addr_b64 v[40:43], v111 offset0:96 offset1:144
	v_add_nc_u32_e32 v28, 0x800, v111
	v_add_nc_u32_e32 v32, 0xc00, v111
	;; [unrolled: 1-line block ×3, first 2 shown]
	s_waitcnt vmcnt(7) lgkmcnt(0)
	v_dual_mul_f32 v126, v40, v27 :: v_dual_lshlrev_b32 v37, 3, v110
	v_mul_f32_e32 v123, v36, v25
	ds_load_2addr_b64 v[44:47], v111 offset0:192 offset1:240
	ds_load_2addr_b64 v[48:51], v28 offset0:32 offset1:80
	ds_load_2addr_b64 v[52:55], v28 offset0:128 offset1:176
	v_mul_f32_e32 v124, v35, v25
	s_waitcnt vmcnt(6)
	v_mul_f32_e32 v127, v43, v17
	ds_load_2addr_b64 v[56:59], v32 offset0:96 offset1:144
	ds_load_2addr_b64 v[60:63], v29 offset0:64 offset1:112
	ds_load_2addr_b64 v[119:122], v29 offset0:160 offset1:208
	v_dual_mul_f32 v125, v41, v27 :: v_dual_mul_f32 v128, v42, v17
	v_fma_f32 v35, v35, v24, -v123
	s_waitcnt vmcnt(5) lgkmcnt(5)
	v_dual_mul_f32 v130, v44, v19 :: v_dual_mul_f32 v131, v47, v9
	s_waitcnt vmcnt(4) lgkmcnt(4)
	v_dual_mul_f32 v133, v49, v11 :: v_dual_mul_f32 v136, v50, v1
	;; [unrolled: 2-line block ×3, first 2 shown]
	v_dual_mul_f32 v138, v52, v3 :: v_dual_mul_f32 v139, v55, v21
	s_waitcnt vmcnt(2) lgkmcnt(2)
	v_dual_mul_f32 v141, v57, v23 :: v_dual_mul_f32 v144, v58, v13
	v_dual_mul_f32 v142, v56, v23 :: v_dual_mul_f32 v143, v59, v13
	s_waitcnt vmcnt(0) lgkmcnt(0)
	v_dual_mul_f32 v149, v120, v7 :: v_dual_mul_f32 v152, v121, v104
	v_dual_mul_f32 v129, v45, v19 :: v_dual_mul_f32 v132, v46, v9
	;; [unrolled: 1-line block ×4, first 2 shown]
	v_fmac_f32_e32 v142, v57, v22
	v_fmac_f32_e32 v136, v51, v0
	;; [unrolled: 1-line block ×5, first 2 shown]
	v_fma_f32 v43, v48, v10, -v133
	v_fma_f32 v51, v119, v6, -v149
	v_fmac_f32_e32 v130, v45, v18
	v_fma_f32 v45, v52, v2, -v137
	v_fmac_f32_e32 v124, v36, v24
	v_fma_f32 v36, v40, v26, -v125
	v_dual_sub_f32 v53, v34, v138 :: v_dual_fmac_f32 v140, v55, v20
	s_delay_alu instid0(VALU_DEP_4)
	v_sub_f32_e32 v45, v33, v45
	v_fmac_f32_e32 v134, v49, v10
	v_fma_f32 v49, v60, v14, -v145
	v_fmac_f32_e32 v132, v47, v8
	v_fma_f32 v47, v56, v22, -v141
	;; [unrolled: 2-line block ×3, first 2 shown]
	v_dual_mul_f32 v146, v60, v15 :: v_dual_mul_f32 v147, v63, v5
	v_dual_mul_f32 v150, v119, v7 :: v_dual_mul_f32 v151, v122, v104
	s_delay_alu instid0(VALU_DEP_3)
	v_sub_f32_e32 v49, v41, v49
	v_sub_f32_e32 v47, v36, v47
	;; [unrolled: 1-line block ×4, first 2 shown]
	v_fma_f32 v44, v50, v0, -v135
	v_fma_f32 v50, v62, v4, -v147
	v_fma_f32 v41, v41, 2.0, -v49
	v_fma_f32 v62, v126, 2.0, -v55
	v_fmac_f32_e32 v150, v120, v6
	v_fma_f32 v43, v43, 2.0, -v51
	v_add_f32_e32 v49, v53, v49
	v_add_f32_e32 v51, v55, v51
	v_sub_f32_e32 v57, v124, v140
	v_fma_f32 v34, v34, 2.0, -v53
	v_fma_f32 v36, v36, 2.0, -v47
	;; [unrolled: 1-line block ×4, first 2 shown]
	v_sub_f32_e32 v56, v134, v150
	s_delay_alu instid0(VALU_DEP_4) | instskip(SKIP_1) | instid1(VALU_DEP_4)
	v_dual_fmac_f32 v148, v63, v4 :: v_dual_sub_f32 v43, v36, v43
	v_fma_f32 v40, v42, v16, -v127
	v_fmamk_f32 v129, v55, 0xbf3504f3, v53
	s_delay_alu instid0(VALU_DEP_4)
	v_fma_f32 v63, v134, 2.0, -v56
	v_sub_f32_e32 v56, v47, v56
	v_fma_f32 v42, v46, v8, -v131
	v_fma_f32 v46, v54, v20, -v139
	;; [unrolled: 1-line block ×3, first 2 shown]
	v_fmac_f32_e32 v146, v61, v14
	v_fma_f32 v47, v47, 2.0, -v56
	v_sub_f32_e32 v58, v132, v148
	v_fma_f32 v33, v33, 2.0, -v45
	v_fma_f32 v119, v124, 2.0, -v57
	v_sub_f32_e32 v63, v62, v63
	v_dual_fmac_f32 v129, 0x3f3504f3, v47 :: v_dual_sub_f32 v46, v35, v46
	v_fma_f32 v120, v132, 2.0, -v58
	v_dual_sub_f32 v41, v33, v41 :: v_dual_sub_f32 v50, v42, v50
	s_delay_alu instid0(VALU_DEP_3) | instskip(SKIP_3) | instid1(VALU_DEP_4)
	v_dual_sub_f32 v59, v128, v144 :: v_dual_sub_f32 v58, v46, v58
	v_sub_f32_e32 v54, v130, v146
	v_fmamk_f32 v124, v51, 0x3f3504f3, v49
	v_fma_f32 v52, v121, v103, -v151
	v_fma_f32 v121, v128, 2.0, -v59
	v_fma_f32 v127, v33, 2.0, -v41
	;; [unrolled: 1-line block ×3, first 2 shown]
	v_sub_f32_e32 v54, v45, v54
	v_fmac_f32_e32 v124, 0x3f3504f3, v56
	v_fma_f32 v33, v36, 2.0, -v43
	v_fma_f32 v135, v53, 2.0, -v129
	v_sub_f32_e32 v61, v34, v61
	v_fma_f32 v45, v45, 2.0, -v54
	v_fmac_f32_e32 v152, v122, v103
	v_fmamk_f32 v123, v56, 0x3f3504f3, v54
	v_fma_f32 v35, v35, 2.0, -v46
	v_fma_f32 v128, v34, 2.0, -v61
	;; [unrolled: 1-line block ×3, first 2 shown]
	v_dual_sub_f32 v60, v136, v152 :: v_dual_sub_f32 v63, v41, v63
	v_fma_f32 v42, v42, 2.0, -v50
	v_fma_f32 v134, v49, 2.0, -v124
	v_fmac_f32_e32 v123, 0xbf3504f3, v51
	s_delay_alu instid0(VALU_DEP_4) | instskip(SKIP_2) | instid1(VALU_DEP_3)
	v_fma_f32 v122, v136, 2.0, -v60
	v_fma_f32 v132, v41, 2.0, -v63
	v_sub_f32_e32 v42, v35, v42
	v_sub_f32_e32 v122, v121, v122
	;; [unrolled: 1-line block ×3, first 2 shown]
	s_delay_alu instid0(VALU_DEP_3) | instskip(SKIP_1) | instid1(VALU_DEP_4)
	v_fma_f32 v62, v35, 2.0, -v42
	v_add_f32_e32 v50, v57, v50
	v_sub_f32_e32 v51, v42, v122
	s_delay_alu instid0(VALU_DEP_4) | instskip(SKIP_1) | instid1(VALU_DEP_4)
	v_fma_f32 v44, v44, 2.0, -v52
	v_add_f32_e32 v52, v59, v52
	v_fma_f32 v57, v57, 2.0, -v50
	v_fma_f32 v36, v121, 2.0, -v122
	v_fmamk_f32 v121, v47, 0xbf3504f3, v45
	s_delay_alu instid0(VALU_DEP_4) | instskip(NEXT) | instid1(VALU_DEP_2)
	v_fma_f32 v59, v59, 2.0, -v52
	v_dual_sub_f32 v48, v40, v48 :: v_dual_fmac_f32 v121, 0xbf3504f3, v55
	s_delay_alu instid0(VALU_DEP_1) | instskip(SKIP_1) | instid1(VALU_DEP_2)
	v_dual_fmamk_f32 v131, v59, 0xbf3504f3, v57 :: v_dual_sub_f32 v60, v48, v60
	v_fma_f32 v40, v40, 2.0, -v48
	v_fma_f32 v48, v48, 2.0, -v60
	s_delay_alu instid0(VALU_DEP_1) | instskip(SKIP_2) | instid1(VALU_DEP_3)
	v_dual_fmac_f32 v131, 0x3f3504f3, v48 :: v_dual_add_f32 v130, v61, v43
	v_fmamk_f32 v125, v60, 0x3f3504f3, v58
	v_fma_f32 v46, v46, 2.0, -v58
	v_fma_f32 v57, v57, 2.0, -v131
	s_delay_alu instid0(VALU_DEP_4) | instskip(SKIP_1) | instid1(VALU_DEP_4)
	v_fma_f32 v61, v61, 2.0, -v130
	v_sub_f32_e32 v44, v40, v44
	v_dual_fmac_f32 v125, 0xbf3504f3, v52 :: v_dual_fmamk_f32 v56, v48, 0xbf3504f3, v46
	v_fma_f32 v133, v54, 2.0, -v123
	s_delay_alu instid0(VALU_DEP_3) | instskip(NEXT) | instid1(VALU_DEP_3)
	v_fma_f32 v35, v40, 2.0, -v44
	v_fma_f32 v58, v58, 2.0, -v125
	s_delay_alu instid0(VALU_DEP_4) | instskip(NEXT) | instid1(VALU_DEP_3)
	v_fmac_f32_e32 v56, 0xbf3504f3, v59
	v_sub_f32_e32 v47, v62, v35
	v_fmamk_f32 v35, v125, 0x3f6c835e, v123
	v_fmamk_f32 v126, v52, 0x3f3504f3, v50
	v_sub_f32_e32 v52, v127, v33
	v_fmamk_f32 v33, v51, 0x3f3504f3, v63
	v_sub_f32_e32 v120, v119, v120
	v_fma_f32 v48, v62, 2.0, -v47
	v_fmac_f32_e32 v126, 0x3f3504f3, v60
	v_sub_f32_e32 v60, v128, v34
	v_fma_f32 v62, v46, 2.0, -v56
	v_add_f32_e32 v122, v120, v44
	v_fmamk_f32 v46, v56, 0x3ec3ef15, v121
	v_fma_f32 v59, v50, 2.0, -v126
	v_fmac_f32_e32 v35, 0xbec3ef15, v126
	s_delay_alu instid0(VALU_DEP_4)
	v_fmac_f32_e32 v33, 0xbf3504f3, v122
	v_fma_f32 v119, v119, 2.0, -v120
	v_fma_f32 v55, v120, 2.0, -v122
	;; [unrolled: 1-line block ×5, first 2 shown]
	v_fmamk_f32 v43, v59, 0xbec3ef15, v134
	v_dual_sub_f32 v44, v119, v36 :: v_dual_add_f32 v45, v60, v47
	v_fmamk_f32 v47, v131, 0x3ec3ef15, v129
	v_fmamk_f32 v34, v122, 0x3f3504f3, v130
	v_fma_f32 v54, v42, 2.0, -v51
	v_fmamk_f32 v41, v55, 0xbf3504f3, v61
	v_fmamk_f32 v50, v62, 0xbf6c835e, v128
	v_fmac_f32_e32 v43, 0x3f6c835e, v58
	v_fma_f32 v49, v119, 2.0, -v44
	v_fmac_f32_e32 v34, 0x3f3504f3, v51
	v_fmamk_f32 v51, v57, 0xbf6c835e, v135
	v_fmamk_f32 v40, v54, 0xbf3504f3, v132
	;; [unrolled: 1-line block ×3, first 2 shown]
	v_fmac_f32_e32 v41, 0x3f3504f3, v54
	v_fmamk_f32 v36, v126, 0x3f6c835e, v124
	v_dual_sub_f32 v44, v52, v44 :: v_dual_fmac_f32 v51, 0x3ec3ef15, v62
	v_dual_sub_f32 v48, v120, v48 :: v_dual_sub_f32 v49, v127, v49
	v_fmac_f32_e32 v50, 0xbec3ef15, v57
	v_fmac_f32_e32 v40, 0xbf3504f3, v55
	;; [unrolled: 1-line block ×6, first 2 shown]
	v_fma_f32 v58, v120, 2.0, -v48
	v_fma_f32 v59, v127, 2.0, -v49
	;; [unrolled: 1-line block ×16, first 2 shown]
	ds_store_2addr_b64 v111, v[58:59], v[119:120] offset1:48
	ds_store_2addr_b64 v111, v[60:61], v[62:63] offset0:96 offset1:144
	ds_store_2addr_b64 v111, v[52:53], v[121:122] offset0:192 offset1:240
	;; [unrolled: 1-line block ×7, first 2 shown]
	s_waitcnt lgkmcnt(0)
	s_barrier
	buffer_gl0_inv
	s_clause 0x4
	global_load_b64 v[40:41], v37, s[8:9]
	global_load_b64 v[42:43], v37, s[8:9] offset:384
	global_load_b64 v[119:120], v37, s[8:9] offset:768
	;; [unrolled: 1-line block ×4, first 2 shown]
	v_add_co_u32 v33, s0, s8, v37
	s_delay_alu instid0(VALU_DEP_1)
	v_add_co_ci_u32_e64 v34, null, s9, 0, s0
	s_clause 0x3
	global_load_b64 v[125:126], v37, s[8:9] offset:1920
	global_load_b64 v[127:128], v37, s[8:9] offset:2304
	;; [unrolled: 1-line block ×4, first 2 shown]
	v_add_co_u32 v33, s0, 0x1000, v33
	s_delay_alu instid0(VALU_DEP_1)
	v_add_co_ci_u32_e64 v34, s0, 0, v34, s0
	s_clause 0x6
	global_load_b64 v[133:134], v37, s[8:9] offset:3456
	global_load_b64 v[135:136], v37, s[8:9] offset:3840
	global_load_b64 v[137:138], v[33:34], off offset:128
	global_load_b64 v[139:140], v39, s[8:9]
	global_load_b64 v[141:142], v[33:34], off offset:896
	global_load_b64 v[143:144], v[33:34], off offset:1280
	global_load_b64 v[145:146], v[33:34], off offset:1664
	ds_load_2addr_b64 v[33:36], v111 offset1:48
	s_waitcnt vmcnt(15) lgkmcnt(0)
	v_mul_f32_e32 v37, v34, v41
	s_waitcnt vmcnt(14)
	v_dual_mul_f32 v44, v33, v41 :: v_dual_mul_f32 v39, v36, v43
	v_mul_f32_e32 v41, v35, v43
	s_delay_alu instid0(VALU_DEP_3) | instskip(NEXT) | instid1(VALU_DEP_3)
	v_fma_f32 v43, v33, v40, -v37
	v_fmac_f32_e32 v44, v34, v40
	s_delay_alu instid0(VALU_DEP_4) | instskip(NEXT) | instid1(VALU_DEP_4)
	v_fma_f32 v40, v35, v42, -v39
	v_fmac_f32_e32 v41, v36, v42
	ds_store_2addr_b64 v111, v[43:44], v[40:41] offset1:48
	ds_load_2addr_b64 v[33:36], v111 offset0:96 offset1:144
	ds_load_2addr_b64 v[39:42], v111 offset0:192 offset1:240
	;; [unrolled: 1-line block ×7, first 2 shown]
	s_waitcnt vmcnt(13) lgkmcnt(6)
	v_mul_f32_e32 v63, v34, v120
	s_waitcnt vmcnt(12)
	v_dual_mul_f32 v147, v33, v120 :: v_dual_mul_f32 v148, v36, v122
	s_waitcnt vmcnt(11) lgkmcnt(5)
	v_dual_mul_f32 v120, v35, v122 :: v_dual_mul_f32 v149, v40, v124
	s_waitcnt vmcnt(10)
	v_dual_mul_f32 v37, v39, v124 :: v_dual_mul_f32 v150, v42, v126
	s_waitcnt vmcnt(9) lgkmcnt(4)
	v_dual_mul_f32 v122, v41, v126 :: v_dual_mul_f32 v151, v44, v128
	v_mul_f32_e32 v124, v43, v128
	s_waitcnt vmcnt(8)
	v_mul_f32_e32 v152, v46, v130
	s_waitcnt vmcnt(7) lgkmcnt(3)
	v_dual_mul_f32 v126, v45, v130 :: v_dual_mul_f32 v153, v48, v132
	v_mul_f32_e32 v128, v47, v132
	s_waitcnt vmcnt(6)
	v_mul_f32_e32 v154, v50, v134
	;; [unrolled: 5-line block ×5, first 2 shown]
	v_mul_f32_e32 v142, v61, v146
	v_fma_f32 v146, v33, v119, -v63
	v_fmac_f32_e32 v147, v34, v119
	v_fma_f32 v119, v35, v121, -v148
	v_fmac_f32_e32 v120, v36, v121
	;; [unrolled: 2-line block ×14, first 2 shown]
	ds_store_2addr_b64 v111, v[146:147], v[119:120] offset0:96 offset1:144
	ds_store_2addr_b64 v111, v[36:37], v[121:122] offset0:192 offset1:240
	;; [unrolled: 1-line block ×7, first 2 shown]
	s_waitcnt lgkmcnt(0)
	s_barrier
	buffer_gl0_inv
	ds_load_2addr_b64 v[33:36], v111 offset1:48
	ds_load_2addr_b64 v[39:42], v28 offset0:128 offset1:176
	ds_load_2addr_b64 v[43:46], v111 offset0:192 offset1:240
	;; [unrolled: 1-line block ×7, first 2 shown]
	s_waitcnt lgkmcnt(0)
	s_barrier
	buffer_gl0_inv
	v_dual_sub_f32 v32, v33, v39 :: v_dual_sub_f32 v41, v35, v41
	v_dual_sub_f32 v39, v43, v47 :: v_dual_sub_f32 v50, v46, v50
	v_sub_f32_e32 v47, v51, v55
	v_sub_f32_e32 v57, v53, v57
	;; [unrolled: 1-line block ×4, first 2 shown]
	v_dual_sub_f32 v58, v54, v58 :: v_dual_sub_f32 v63, v61, v121
	v_fma_f32 v46, v46, 2.0, -v50
	v_add_f32_e32 v50, v41, v50
	s_delay_alu instid0(VALU_DEP_4)
	v_fma_f32 v62, v62, 2.0, -v119
	v_add_f32_e32 v119, v57, v119
	v_fma_f32 v61, v61, 2.0, -v63
	v_sub_f32_e32 v63, v58, v63
	v_sub_f32_e32 v37, v34, v40
	;; [unrolled: 1-line block ×3, first 2 shown]
	v_fmamk_f32 v122, v119, 0x3f3504f3, v50
	v_dual_sub_f32 v42, v36, v42 :: v_dual_sub_f32 v49, v45, v49
	v_fma_f32 v33, v33, 2.0, -v32
	v_fma_f32 v34, v34, 2.0, -v37
	s_delay_alu instid0(VALU_DEP_4)
	v_fmac_f32_e32 v122, 0x3f3504f3, v63
	v_sub_f32_e32 v48, v52, v56
	v_sub_f32_e32 v56, v60, v120
	v_fma_f32 v43, v43, 2.0, -v39
	v_fma_f32 v44, v44, 2.0, -v40
	;; [unrolled: 1-line block ×9, first 2 shown]
	v_dual_add_f32 v40, v32, v40 :: v_dual_sub_f32 v39, v37, v39
	v_sub_f32_e32 v55, v48, v55
	v_dual_sub_f32 v49, v42, v49 :: v_dual_add_f32 v56, v47, v56
	v_dual_sub_f32 v43, v33, v43 :: v_dual_sub_f32 v44, v34, v44
	s_delay_alu instid0(VALU_DEP_4)
	v_fma_f32 v120, v32, 2.0, -v40
	v_dual_sub_f32 v32, v51, v59 :: v_dual_sub_f32 v59, v52, v60
	v_sub_f32_e32 v45, v35, v45
	v_dual_sub_f32 v60, v53, v61 :: v_dual_fmamk_f32 v121, v55, 0x3f3504f3, v39
	v_fmamk_f32 v123, v63, 0x3f3504f3, v49
	v_fma_f32 v54, v54, 2.0, -v58
	v_fma_f32 v124, v33, 2.0, -v43
	;; [unrolled: 1-line block ×5, first 2 shown]
	v_sub_f32_e32 v126, v44, v32
	v_fmac_f32_e32 v121, 0xbf3504f3, v56
	v_fmac_f32_e32 v123, 0xbf3504f3, v119
	v_fma_f32 v47, v47, 2.0, -v56
	v_fma_f32 v41, v41, 2.0, -v50
	v_sub_f32_e32 v61, v54, v62
	v_fma_f32 v57, v57, 2.0, -v119
	v_fmamk_f32 v62, v56, 0x3f3504f3, v40
	v_fma_f32 v125, v34, 2.0, -v44
	v_fma_f32 v128, v44, 2.0, -v126
	v_sub_f32_e32 v44, v51, v35
	v_fmamk_f32 v35, v123, 0x3f6c835e, v121
	v_fma_f32 v36, v36, 2.0, -v42
	v_fma_f32 v42, v42, 2.0, -v49
	;; [unrolled: 1-line block ×3, first 2 shown]
	v_fmamk_f32 v53, v47, 0xbf3504f3, v120
	v_fmac_f32_e32 v62, 0x3f3504f3, v55
	v_fmac_f32_e32 v35, 0xbec3ef15, v122
	v_fma_f32 v48, v48, 2.0, -v55
	v_fmamk_f32 v55, v57, 0xbf3504f3, v41
	v_fma_f32 v37, v37, 2.0, -v39
	v_sub_f32_e32 v46, v36, v46
	v_fmamk_f32 v56, v58, 0xbf3504f3, v42
	v_fmac_f32_e32 v53, 0x3f3504f3, v48
	v_fmac_f32_e32 v55, 0x3f3504f3, v58
	v_fma_f32 v34, v52, 2.0, -v59
	v_fma_f32 v36, v36, 2.0, -v46
	;; [unrolled: 1-line block ×3, first 2 shown]
	v_dual_fmamk_f32 v54, v48, 0xbf3504f3, v37 :: v_dual_add_f32 v59, v43, v59
	v_add_f32_e32 v61, v45, v61
	v_fmac_f32_e32 v56, 0xbf3504f3, v57
	v_fma_f32 v132, v120, 2.0, -v53
	v_fma_f32 v120, v41, 2.0, -v55
	v_sub_f32_e32 v60, v46, v60
	v_fmac_f32_e32 v54, 0xbf3504f3, v47
	v_fma_f32 v127, v43, 2.0, -v59
	v_sub_f32_e32 v43, v36, v52
	v_fma_f32 v52, v45, 2.0, -v61
	v_fma_f32 v131, v49, 2.0, -v123
	v_fmamk_f32 v49, v120, 0xbf6c835e, v132
	v_fma_f32 v133, v42, 2.0, -v56
	v_fmamk_f32 v45, v55, 0x3ec3ef15, v53
	v_sub_f32_e32 v63, v124, v33
	v_sub_f32_e32 v119, v125, v34
	v_fma_f32 v130, v39, 2.0, -v121
	v_fma_f32 v57, v46, 2.0, -v60
	;; [unrolled: 1-line block ×3, first 2 shown]
	v_fmac_f32_e32 v45, 0x3f6c835e, v56
	v_fma_f32 v58, v50, 2.0, -v122
	v_fmac_f32_e32 v49, 0x3ec3ef15, v133
	v_fma_f32 v129, v40, 2.0, -v62
	v_dual_fmamk_f32 v32, v61, 0x3f3504f3, v59 :: v_dual_fmamk_f32 v33, v60, 0x3f3504f3, v126
	v_fmamk_f32 v34, v122, 0x3f6c835e, v62
	v_fmamk_f32 v46, v56, 0x3ec3ef15, v54
	v_fma_f32 v124, v124, 2.0, -v63
	v_fma_f32 v125, v125, 2.0, -v119
	;; [unrolled: 1-line block ×4, first 2 shown]
	v_dual_fmamk_f32 v39, v52, 0xbf3504f3, v127 :: v_dual_fmamk_f32 v40, v57, 0xbf3504f3, v128
	v_dual_fmamk_f32 v41, v58, 0xbec3ef15, v129 :: v_dual_fmamk_f32 v42, v131, 0xbec3ef15, v130
	v_fmamk_f32 v50, v133, 0xbf6c835e, v37
	v_fmac_f32_e32 v32, 0x3f3504f3, v60
	v_fmac_f32_e32 v33, 0xbf3504f3, v61
	;; [unrolled: 1-line block ×3, first 2 shown]
	v_add_f32_e32 v43, v63, v43
	v_sub_f32_e32 v44, v119, v44
	v_fmac_f32_e32 v46, 0xbf6c835e, v55
	v_dual_sub_f32 v47, v124, v47 :: v_dual_sub_f32 v48, v125, v36
	v_fmac_f32_e32 v39, 0x3f3504f3, v57
	v_fmac_f32_e32 v40, 0xbf3504f3, v52
	;; [unrolled: 1-line block ×5, first 2 shown]
	v_fma_f32 v55, v59, 2.0, -v32
	v_fma_f32 v56, v126, 2.0, -v33
	;; [unrolled: 1-line block ×16, first 2 shown]
	ds_store_b128 v38, v[32:35] offset:112
	ds_store_b128 v38, v[43:46] offset:96
	ds_store_b128 v38, v[55:58] offset:48
	ds_store_b128 v38, v[51:54] offset:32
	ds_store_b128 v38, v[39:42] offset:80
	ds_store_b128 v38, v[47:50] offset:64
	ds_store_b128 v38, v[119:122] offset:16
	ds_store_b128 v38, v[59:62]
	s_waitcnt lgkmcnt(0)
	s_barrier
	buffer_gl0_inv
	ds_load_2addr_b64 v[44:47], v111 offset1:48
	ds_load_2addr_b64 v[60:63], v29 offset1:48
	ds_load_2addr_b64 v[56:59], v28 offset0:48 offset1:96
	ds_load_2addr_b64 v[40:43], v111 offset0:96 offset1:144
	;; [unrolled: 1-line block ×4, first 2 shown]
	ds_load_2addr_stride64_b64 v[36:39], v111 offset0:3 offset1:4
	ds_load_b64 v[32:33], v111 offset:5632
	s_and_saveexec_b32 s0, vcc_lo
	s_cbranch_execz .LBB0_7
; %bb.6:
	v_add_nc_u32_e32 v28, 0x180, v111
	ds_load_2addr_stride64_b64 v[28:31], v28 offset0:3 offset1:7
	ds_load_b64 v[105:106], v111 offset:6016
	s_waitcnt lgkmcnt(1)
	v_dual_mov_b32 v35, v29 :: v_dual_mov_b32 v34, v28
.LBB0_7:
	s_or_b32 exec_lo, exec_lo, s0
	s_waitcnt lgkmcnt(1)
	v_dual_mul_f32 v119, v98, v39 :: v_dual_mul_f32 v120, v100, v61
	v_dual_mul_f32 v28, v98, v38 :: v_dual_mul_f32 v29, v100, v60
	v_mul_f32_e32 v123, v98, v51
	s_delay_alu instid0(VALU_DEP_3) | instskip(NEXT) | instid1(VALU_DEP_4)
	v_fmac_f32_e32 v119, v114, v38
	v_fmac_f32_e32 v120, v102, v60
	s_delay_alu instid0(VALU_DEP_4)
	v_fma_f32 v38, v114, v39, -v28
	v_fma_f32 v39, v102, v61, -v29
	v_mul_f32_e32 v29, v100, v62
	v_dual_mul_f32 v60, v100, v63 :: v_dual_mul_f32 v121, v98, v57
	v_mul_f32_e32 v28, v98, v56
	s_waitcnt lgkmcnt(0)
	s_delay_alu instid0(VALU_DEP_3)
	v_fma_f32 v61, v102, v63, -v29
	v_mul_f32_e32 v63, v100, v55
	v_fmac_f32_e32 v121, v114, v56
	v_dual_fmac_f32 v60, v102, v62 :: v_dual_mul_f32 v29, v100, v52
	v_mul_f32_e32 v62, v100, v53
	v_fma_f32 v56, v114, v57, -v28
	v_mul_f32_e32 v57, v98, v59
	v_mul_f32_e32 v28, v98, v58
	v_fma_f32 v53, v102, v53, -v29
	v_dual_fmac_f32 v62, v102, v52 :: v_dual_mul_f32 v29, v100, v54
	s_delay_alu instid0(VALU_DEP_4)
	v_fmac_f32_e32 v57, v114, v58
	s_barrier
	buffer_gl0_inv
	v_fma_f32 v55, v102, v55, -v29
	v_mul_f32_e32 v29, v100, v32
	v_fma_f32 v58, v114, v59, -v28
	v_mul_f32_e32 v28, v98, v48
	v_mul_f32_e32 v59, v98, v49
	s_delay_alu instid0(VALU_DEP_2) | instskip(SKIP_3) | instid1(VALU_DEP_3)
	v_fma_f32 v122, v114, v49, -v28
	v_mul_f32_e32 v28, v98, v50
	v_mul_f32_e32 v98, v100, v33
	v_sub_f32_e32 v49, v56, v61
	v_fma_f32 v100, v114, v51, -v28
	v_add_f32_e32 v28, v119, v120
	s_delay_alu instid0(VALU_DEP_4) | instskip(SKIP_2) | instid1(VALU_DEP_4)
	v_fmac_f32_e32 v98, v102, v32
	v_dual_add_f32 v32, v44, v119 :: v_dual_sub_f32 v51, v121, v60
	v_add_f32_e32 v52, v40, v57
	v_fma_f32 v28, -0.5, v28, v44
	v_fmac_f32_e32 v63, v102, v54
	v_fma_f32 v102, v102, v33, -v29
	v_dual_sub_f32 v33, v38, v39 :: v_dual_add_f32 v32, v32, v120
	v_dual_fmac_f32 v59, v114, v48 :: v_dual_add_f32 v44, v45, v38
	v_add_f32_e32 v48, v46, v121
	s_delay_alu instid0(VALU_DEP_3) | instskip(SKIP_1) | instid1(VALU_DEP_4)
	v_dual_add_f32 v29, v38, v39 :: v_dual_fmamk_f32 v38, v33, 0xbf5db3d7, v28
	v_dual_fmac_f32 v123, v114, v50 :: v_dual_add_f32 v50, v47, v56
	v_dual_fmac_f32 v28, 0x3f5db3d7, v33 :: v_dual_add_f32 v33, v44, v39
	v_add_f32_e32 v44, v121, v60
	v_sub_f32_e32 v54, v58, v53
	s_delay_alu instid0(VALU_DEP_2) | instskip(SKIP_3) | instid1(VALU_DEP_1)
	v_fma_f32 v46, -0.5, v44, v46
	v_add_f32_e32 v44, v48, v60
	v_fma_f32 v29, -0.5, v29, v45
	v_sub_f32_e32 v45, v119, v120
	v_dual_add_f32 v60, v43, v122 :: v_dual_fmamk_f32 v39, v45, 0x3f5db3d7, v29
	v_fmac_f32_e32 v29, 0xbf5db3d7, v45
	v_dual_add_f32 v45, v56, v61 :: v_dual_add_f32 v56, v41, v58
	s_delay_alu instid0(VALU_DEP_1) | instskip(SKIP_3) | instid1(VALU_DEP_3)
	v_dual_fmamk_f32 v48, v49, 0xbf5db3d7, v46 :: v_dual_fmac_f32 v47, -0.5, v45
	v_dual_add_f32 v45, v50, v61 :: v_dual_add_f32 v50, v57, v62
	v_sub_f32_e32 v57, v57, v62
	v_sub_f32_e32 v61, v100, v102
	v_fma_f32 v40, -0.5, v50, v40
	v_add_f32_e32 v50, v52, v62
	v_dual_fmac_f32 v46, 0x3f5db3d7, v49 :: v_dual_fmamk_f32 v49, v51, 0x3f5db3d7, v47
	v_fmac_f32_e32 v47, 0xbf5db3d7, v51
	v_add_f32_e32 v51, v58, v53
	v_fmamk_f32 v52, v54, 0xbf5db3d7, v40
	v_fmac_f32_e32 v40, 0x3f5db3d7, v54
	v_add_f32_e32 v54, v59, v63
	v_sub_f32_e32 v58, v122, v55
	v_fma_f32 v41, -0.5, v51, v41
	v_dual_add_f32 v51, v56, v53 :: v_dual_add_f32 v56, v42, v59
	s_delay_alu instid0(VALU_DEP_4) | instskip(SKIP_1) | instid1(VALU_DEP_4)
	v_fma_f32 v42, -0.5, v54, v42
	v_sub_f32_e32 v59, v59, v63
	v_fmamk_f32 v53, v57, 0x3f5db3d7, v41
	v_fmac_f32_e32 v41, 0xbf5db3d7, v57
	v_add_f32_e32 v57, v122, v55
	v_add_f32_e32 v54, v56, v63
	v_fmamk_f32 v56, v58, 0xbf5db3d7, v42
	v_dual_fmac_f32 v42, 0x3f5db3d7, v58 :: v_dual_add_f32 v55, v60, v55
	s_delay_alu instid0(VALU_DEP_4) | instskip(SKIP_1) | instid1(VALU_DEP_2)
	v_dual_fmac_f32 v43, -0.5, v57 :: v_dual_add_f32 v58, v123, v98
	v_add_f32_e32 v60, v36, v123
	v_dual_add_f32 v62, v37, v100 :: v_dual_fmamk_f32 v57, v59, 0x3f5db3d7, v43
	v_fmac_f32_e32 v43, 0xbf5db3d7, v59
	v_add_f32_e32 v59, v100, v102
	v_fma_f32 v36, -0.5, v58, v36
	v_sub_f32_e32 v63, v123, v98
	s_delay_alu instid0(VALU_DEP_3) | instskip(NEXT) | instid1(VALU_DEP_3)
	v_dual_add_f32 v58, v60, v98 :: v_dual_fmac_f32 v37, -0.5, v59
	v_fmamk_f32 v60, v61, 0xbf5db3d7, v36
	v_dual_fmac_f32 v36, 0x3f5db3d7, v61 :: v_dual_add_f32 v59, v62, v102
	s_delay_alu instid0(VALU_DEP_3)
	v_fmamk_f32 v61, v63, 0x3f5db3d7, v37
	v_fmac_f32_e32 v37, 0xbf5db3d7, v63
	ds_store_2addr_b64 v118, v[32:33], v[38:39] offset1:16
	ds_store_b64 v118, v[28:29] offset:256
	ds_store_2addr_b64 v117, v[44:45], v[48:49] offset1:16
	ds_store_b64 v117, v[46:47] offset:256
	;; [unrolled: 2-line block ×5, first 2 shown]
	s_and_saveexec_b32 s0, vcc_lo
	s_cbranch_execz .LBB0_9
; %bb.8:
	v_dual_mul_f32 v28, v101, v30 :: v_dual_mul_f32 v29, v112, v105
	v_dual_mul_f32 v32, v101, v31 :: v_dual_mul_f32 v33, v112, v106
	s_delay_alu instid0(VALU_DEP_2) | instskip(NEXT) | instid1(VALU_DEP_3)
	v_fma_f32 v28, v97, v31, -v28
	v_fma_f32 v31, v99, v106, -v29
	s_delay_alu instid0(VALU_DEP_3) | instskip(NEXT) | instid1(VALU_DEP_3)
	v_dual_fmac_f32 v32, v97, v30 :: v_dual_fmac_f32 v33, v99, v105
	v_add_f32_e32 v37, v35, v28
	s_delay_alu instid0(VALU_DEP_3) | instskip(NEXT) | instid1(VALU_DEP_3)
	v_add_f32_e32 v29, v28, v31
	v_sub_f32_e32 v36, v32, v33
	v_add_f32_e32 v30, v32, v33
	v_add_f32_e32 v32, v34, v32
	s_delay_alu instid0(VALU_DEP_4)
	v_fma_f32 v29, -0.5, v29, v35
	v_sub_f32_e32 v35, v28, v31
	v_add_f32_e32 v31, v37, v31
	v_fma_f32 v28, -0.5, v30, v34
	v_add_f32_e32 v30, v32, v33
	v_fmamk_f32 v33, v36, 0xbf5db3d7, v29
	v_fmac_f32_e32 v29, 0x3f5db3d7, v36
	v_add_nc_u32_e32 v34, 0x1000, v111
	v_fmamk_f32 v32, v35, 0x3f5db3d7, v28
	v_fmac_f32_e32 v28, 0xbf5db3d7, v35
	ds_store_2addr_b64 v34, v[30:31], v[28:29] offset0:208 offset1:224
	ds_store_b64 v111, v[32:33] offset:6016
.LBB0_9:
	s_or_b32 exec_lo, exec_lo, s0
	s_waitcnt lgkmcnt(0)
	s_barrier
	buffer_gl0_inv
	ds_load_2addr_b64 v[31:34], v111 offset1:48
	ds_load_2addr_b64 v[35:38], v111 offset0:96 offset1:144
	ds_load_2addr_b64 v[39:42], v111 offset0:192 offset1:240
	v_add_nc_u32_e32 v30, 0x800, v111
	v_add_nc_u32_e32 v29, 0xc00, v111
	;; [unrolled: 1-line block ×3, first 2 shown]
	s_mov_b32 s0, 0x55555555
	s_mov_b32 s1, 0x3f555555
	s_waitcnt lgkmcnt(2)
	v_mul_f32_e32 v63, v25, v34
	v_mul_f32_e32 v25, v25, v33
	s_waitcnt lgkmcnt(1)
	v_mul_f32_e32 v98, v17, v38
	ds_load_2addr_b64 v[43:46], v30 offset0:32 offset1:80
	ds_load_2addr_b64 v[47:50], v30 offset0:128 offset1:176
	;; [unrolled: 1-line block ×5, first 2 shown]
	v_mul_f32_e32 v17, v17, v37
	v_mul_f32_e32 v97, v27, v36
	s_waitcnt lgkmcnt(5)
	v_dual_mul_f32 v99, v19, v40 :: v_dual_fmac_f32 v98, v16, v37
	v_mul_f32_e32 v19, v19, v39
	v_fma_f32 v16, v16, v38, -v17
	v_mul_f32_e32 v17, v9, v42
	v_mul_f32_e32 v9, v9, v41
	v_fmac_f32_e32 v63, v24, v33
	v_fma_f32 v24, v24, v34, -v25
	v_fmac_f32_e32 v99, v18, v39
	v_fma_f32 v18, v18, v40, -v19
	;; [unrolled: 2-line block ×3, first 2 shown]
	v_mul_f32_e32 v27, v27, v35
	s_waitcnt lgkmcnt(4)
	v_mul_f32_e32 v19, v11, v44
	v_mul_f32_e32 v9, v11, v43
	;; [unrolled: 1-line block ×3, first 2 shown]
	v_fmac_f32_e32 v97, v26, v35
	s_delay_alu instid0(VALU_DEP_3)
	v_fma_f32 v9, v10, v44, -v9
	s_waitcnt lgkmcnt(3)
	v_dual_fmac_f32 v19, v10, v43 :: v_dual_mul_f32 v10, v21, v49
	v_mul_f32_e32 v1, v1, v45
	v_fmac_f32_e32 v11, v0, v45
	v_fma_f32 v25, v26, v36, -v27
	v_mul_f32_e32 v26, v3, v48
	v_fma_f32 v10, v20, v50, -v10
	v_fma_f32 v0, v0, v46, -v1
	s_delay_alu instid0(VALU_DEP_3) | instskip(NEXT) | instid1(VALU_DEP_3)
	v_fmac_f32_e32 v26, v2, v47
	v_sub_f32_e32 v10, v24, v10
	s_delay_alu instid0(VALU_DEP_1) | instskip(SKIP_2) | instid1(VALU_DEP_1)
	v_fma_f32 v24, v24, 2.0, -v10
	v_mul_f32_e32 v1, v21, v50
	s_waitcnt lgkmcnt(2)
	v_dual_fmac_f32 v1, v20, v49 :: v_dual_mul_f32 v20, v13, v54
	v_mul_f32_e32 v13, v13, v53
	s_delay_alu instid0(VALU_DEP_2) | instskip(NEXT) | instid1(VALU_DEP_3)
	v_sub_f32_e32 v1, v63, v1
	v_fmac_f32_e32 v20, v12, v53
	s_delay_alu instid0(VALU_DEP_3)
	v_fma_f32 v12, v12, v54, -v13
	v_mul_f32_e32 v3, v3, v47
	v_mul_f32_e32 v21, v23, v51
	v_fma_f32 v33, v63, 2.0, -v1
	v_sub_f32_e32 v20, v98, v20
	v_sub_f32_e32 v12, v16, v12
	v_fma_f32 v2, v2, v48, -v3
	s_delay_alu instid0(VALU_DEP_3) | instskip(NEXT) | instid1(VALU_DEP_3)
	v_fma_f32 v34, v98, 2.0, -v20
	v_fma_f32 v16, v16, 2.0, -v12
	s_delay_alu instid0(VALU_DEP_3) | instskip(SKIP_3) | instid1(VALU_DEP_3)
	v_dual_sub_f32 v2, v32, v2 :: v_dual_mul_f32 v3, v23, v52
	s_waitcnt lgkmcnt(1)
	v_mul_f32_e32 v23, v5, v58
	v_mul_f32_e32 v5, v5, v57
	v_fma_f32 v27, v32, 2.0, -v2
	s_delay_alu instid0(VALU_DEP_3) | instskip(NEXT) | instid1(VALU_DEP_3)
	v_fmac_f32_e32 v23, v4, v57
	v_fma_f32 v4, v4, v58, -v5
	s_delay_alu instid0(VALU_DEP_1) | instskip(NEXT) | instid1(VALU_DEP_1)
	v_sub_f32_e32 v4, v8, v4
	v_fma_f32 v8, v8, 2.0, -v4
	v_add_f32_e32 v4, v1, v4
	v_fma_f32 v21, v22, v52, -v21
	s_delay_alu instid0(VALU_DEP_1) | instskip(SKIP_2) | instid1(VALU_DEP_3)
	v_dual_sub_f32 v8, v24, v8 :: v_dual_sub_f32 v21, v25, v21
	v_dual_fmac_f32 v3, v22, v51 :: v_dual_mul_f32 v22, v15, v56
	v_mul_f32_e32 v15, v15, v55
	v_fma_f32 v24, v24, 2.0, -v8
	s_delay_alu instid0(VALU_DEP_4) | instskip(NEXT) | instid1(VALU_DEP_4)
	v_fma_f32 v25, v25, 2.0, -v21
	v_fmac_f32_e32 v22, v14, v55
	s_delay_alu instid0(VALU_DEP_4) | instskip(SKIP_4) | instid1(VALU_DEP_3)
	v_fma_f32 v13, v14, v56, -v15
	s_waitcnt lgkmcnt(0)
	v_mul_f32_e32 v14, v7, v60
	v_mul_f32_e32 v7, v7, v59
	v_sub_f32_e32 v22, v99, v22
	v_fmac_f32_e32 v14, v6, v59
	s_delay_alu instid0(VALU_DEP_3) | instskip(SKIP_1) | instid1(VALU_DEP_2)
	v_fma_f32 v6, v6, v60, -v7
	v_sub_f32_e32 v7, v31, v26
	v_sub_f32_e32 v6, v9, v6
	s_delay_alu instid0(VALU_DEP_4) | instskip(NEXT) | instid1(VALU_DEP_3)
	v_sub_f32_e32 v14, v19, v14
	v_fma_f32 v26, v31, 2.0, -v7
	v_fma_f32 v31, v99, 2.0, -v22
	v_sub_f32_e32 v22, v2, v22
	v_fma_f32 v9, v9, 2.0, -v6
	v_fma_f32 v19, v19, 2.0, -v14
	s_delay_alu instid0(VALU_DEP_4) | instskip(NEXT) | instid1(VALU_DEP_4)
	v_dual_sub_f32 v14, v21, v14 :: v_dual_sub_f32 v31, v26, v31
	v_fma_f32 v2, v2, 2.0, -v22
	s_delay_alu instid0(VALU_DEP_4) | instskip(SKIP_1) | instid1(VALU_DEP_4)
	v_sub_f32_e32 v9, v25, v9
	v_mul_f32_e32 v5, v104, v62
	v_fma_f32 v21, v21, 2.0, -v14
	v_fmamk_f32 v40, v14, 0x3f3504f3, v22
	v_fma_f32 v26, v26, 2.0, -v31
	v_add_f32_e32 v38, v31, v9
	s_delay_alu instid0(VALU_DEP_4) | instskip(SKIP_1) | instid1(VALU_DEP_1)
	v_fmamk_f32 v36, v21, 0xbf3504f3, v2
	v_sub_f32_e32 v23, v17, v23
	v_fma_f32 v17, v17, 2.0, -v23
	v_sub_f32_e32 v23, v10, v23
	s_delay_alu instid0(VALU_DEP_2) | instskip(NEXT) | instid1(VALU_DEP_2)
	v_sub_f32_e32 v17, v33, v17
	v_fma_f32 v10, v10, 2.0, -v23
	s_delay_alu instid0(VALU_DEP_2) | instskip(SKIP_1) | instid1(VALU_DEP_1)
	v_fma_f32 v33, v33, 2.0, -v17
	v_fmac_f32_e32 v5, v103, v61
	v_sub_f32_e32 v5, v11, v5
	s_delay_alu instid0(VALU_DEP_1) | instskip(SKIP_1) | instid1(VALU_DEP_1)
	v_fma_f32 v11, v11, 2.0, -v5
	v_sub_f32_e32 v5, v12, v5
	v_fma_f32 v12, v12, 2.0, -v5
	v_sub_f32_e32 v13, v18, v13
	v_fmamk_f32 v45, v5, 0x3f3504f3, v23
	s_delay_alu instid0(VALU_DEP_3) | instskip(NEXT) | instid1(VALU_DEP_3)
	v_dual_fmamk_f32 v42, v12, 0xbf3504f3, v10 :: v_dual_sub_f32 v3, v97, v3
	v_fma_f32 v18, v18, 2.0, -v13
	s_delay_alu instid0(VALU_DEP_2) | instskip(NEXT) | instid1(VALU_DEP_2)
	v_dual_add_f32 v6, v3, v6 :: v_dual_mul_f32 v15, v104, v61
	v_sub_f32_e32 v18, v27, v18
	s_delay_alu instid0(VALU_DEP_2) | instskip(NEXT) | instid1(VALU_DEP_3)
	v_fmac_f32_e32 v40, 0xbf3504f3, v6
	v_fma_f32 v15, v103, v62, -v15
	s_delay_alu instid0(VALU_DEP_3) | instskip(NEXT) | instid1(VALU_DEP_3)
	v_fma_f32 v27, v27, 2.0, -v18
	v_fma_f32 v22, v22, 2.0, -v40
	s_delay_alu instid0(VALU_DEP_3) | instskip(NEXT) | instid1(VALU_DEP_1)
	v_sub_f32_e32 v15, v0, v15
	v_fma_f32 v0, v0, 2.0, -v15
	s_delay_alu instid0(VALU_DEP_1) | instskip(NEXT) | instid1(VALU_DEP_1)
	v_sub_f32_e32 v0, v16, v0
	v_fma_f32 v16, v16, 2.0, -v0
	v_add_f32_e32 v43, v17, v0
	s_delay_alu instid0(VALU_DEP_2) | instskip(SKIP_1) | instid1(VALU_DEP_2)
	v_dual_sub_f32 v11, v34, v11 :: v_dual_sub_f32 v16, v24, v16
	v_add_f32_e32 v13, v7, v13
	v_fma_f32 v34, v34, 2.0, -v11
	v_sub_f32_e32 v44, v8, v11
	v_fma_f32 v11, v17, 2.0, -v43
	s_delay_alu instid0(VALU_DEP_4) | instskip(SKIP_2) | instid1(VALU_DEP_3)
	v_fmamk_f32 v37, v6, 0x3f3504f3, v13
	v_fma_f32 v7, v7, 2.0, -v13
	v_sub_f32_e32 v34, v33, v34
	v_fmac_f32_e32 v37, 0x3f3504f3, v14
	v_add_f32_e32 v15, v20, v15
	v_fma_f32 v14, v31, 2.0, -v38
	s_delay_alu instid0(VALU_DEP_2) | instskip(NEXT) | instid1(VALU_DEP_1)
	v_fma_f32 v20, v20, 2.0, -v15
	v_fmac_f32_e32 v42, 0xbf3504f3, v20
	v_fma_f32 v32, v97, 2.0, -v3
	v_fma_f32 v3, v3, 2.0, -v6
	s_delay_alu instid0(VALU_DEP_3) | instskip(NEXT) | instid1(VALU_DEP_3)
	v_fma_f32 v6, v10, 2.0, -v42
	v_sub_f32_e32 v19, v32, v19
	s_delay_alu instid0(VALU_DEP_3) | instskip(SKIP_1) | instid1(VALU_DEP_3)
	v_dual_fmamk_f32 v35, v3, 0xbf3504f3, v7 :: v_dual_fmac_f32 v36, 0xbf3504f3, v3
	v_fma_f32 v3, v24, 2.0, -v16
	v_fma_f32 v32, v32, 2.0, -v19
	s_delay_alu instid0(VALU_DEP_3) | instskip(SKIP_4) | instid1(VALU_DEP_1)
	v_fmac_f32_e32 v35, 0x3f3504f3, v21
	v_sub_f32_e32 v39, v18, v19
	v_fma_f32 v19, v2, 2.0, -v36
	v_fma_f32 v2, v33, 2.0, -v34
	v_dual_sub_f32 v32, v26, v32 :: v_dual_fmamk_f32 v33, v15, 0x3f3504f3, v4
	v_fma_f32 v21, v26, 2.0, -v32
	v_add_f32_e32 v16, v32, v16
	v_fma_f32 v25, v25, 2.0, -v9
	s_delay_alu instid0(VALU_DEP_3) | instskip(SKIP_1) | instid1(VALU_DEP_2)
	v_dual_fmac_f32 v33, 0x3f3504f3, v5 :: v_dual_sub_f32 v0, v21, v2
	v_fma_f32 v1, v1, 2.0, -v4
	v_dual_sub_f32 v25, v27, v25 :: v_dual_fmamk_f32 v24, v33, 0x3f6c835e, v37
	v_fmac_f32_e32 v45, 0xbf3504f3, v15
	v_fma_f32 v15, v4, 2.0, -v33
	s_delay_alu instid0(VALU_DEP_4) | instskip(NEXT) | instid1(VALU_DEP_4)
	v_fmamk_f32 v31, v20, 0xbf3504f3, v1
	v_fma_f32 v26, v27, 2.0, -v25
	v_fma_f32 v27, v7, 2.0, -v35
	v_fmac_f32_e32 v24, 0x3ec3ef15, v45
	v_fma_f32 v18, v18, 2.0, -v39
	v_fmac_f32_e32 v31, 0x3f3504f3, v12
	v_fma_f32 v12, v8, 2.0, -v44
	v_sub_f32_e32 v17, v25, v34
	v_fma_f32 v4, v21, 2.0, -v0
	v_fma_f32 v20, v32, 2.0, -v16
	;; [unrolled: 1-line block ×3, first 2 shown]
	v_sub_f32_e32 v1, v26, v3
	v_fmamk_f32 v3, v6, 0xbf6c835e, v19
	v_fmamk_f32 v7, v12, 0xbf3504f3, v18
	v_fma_f32 v21, v25, 2.0, -v17
	v_fmamk_f32 v2, v9, 0xbf6c835e, v27
	v_fmamk_f32 v25, v45, 0x3f6c835e, v40
	v_fmac_f32_e32 v3, 0xbec3ef15, v9
	v_fmac_f32_e32 v7, 0xbf3504f3, v11
	v_fma_f32 v5, v26, 2.0, -v1
	v_fmac_f32_e32 v2, 0x3ec3ef15, v6
	v_fmamk_f32 v6, v11, 0xbf3504f3, v14
	v_fma_f32 v11, v19, 2.0, -v3
	v_fmamk_f32 v19, v42, 0x3ec3ef15, v36
	v_fmac_f32_e32 v25, 0xbec3ef15, v33
	v_fma_f32 v10, v27, 2.0, -v2
	v_fmac_f32_e32 v6, 0x3f3504f3, v12
	v_fma_f32 v41, v13, 2.0, -v37
	v_fma_f32 v13, v23, 2.0, -v45
	v_fmamk_f32 v23, v44, 0x3f3504f3, v39
	v_fmac_f32_e32 v19, 0xbf6c835e, v31
	v_fma_f32 v12, v14, 2.0, -v6
	s_delay_alu instid0(VALU_DEP_4) | instskip(NEXT) | instid1(VALU_DEP_4)
	v_dual_fmamk_f32 v8, v15, 0xbec3ef15, v41 :: v_dual_fmamk_f32 v9, v13, 0xbec3ef15, v22
	v_fmac_f32_e32 v23, 0xbf3504f3, v43
	s_delay_alu instid0(VALU_DEP_4) | instskip(SKIP_1) | instid1(VALU_DEP_4)
	v_fma_f32 v27, v36, 2.0, -v19
	v_fma_f32 v33, v37, 2.0, -v24
	v_fmac_f32_e32 v8, 0x3f6c835e, v13
	v_fmac_f32_e32 v9, 0xbf6c835e, v15
	v_fma_f32 v13, v18, 2.0, -v7
	v_fmamk_f32 v18, v31, 0x3ec3ef15, v35
	v_fma_f32 v32, v39, 2.0, -v23
	v_fma_f32 v14, v41, 2.0, -v8
	;; [unrolled: 1-line block ×3, first 2 shown]
	v_fmamk_f32 v22, v43, 0x3f3504f3, v38
	v_fmac_f32_e32 v18, 0x3f6c835e, v42
	v_fma_f32 v34, v40, 2.0, -v25
	s_delay_alu instid0(VALU_DEP_3) | instskip(NEXT) | instid1(VALU_DEP_3)
	v_fmac_f32_e32 v22, 0x3f3504f3, v44
	v_fma_f32 v26, v35, 2.0, -v18
	s_delay_alu instid0(VALU_DEP_2)
	v_fma_f32 v31, v38, 2.0, -v22
	ds_store_2addr_b64 v111, v[4:5], v[10:11] offset1:48
	ds_store_2addr_b64 v111, v[12:13], v[14:15] offset0:96 offset1:144
	ds_store_2addr_b64 v111, v[20:21], v[26:27] offset0:192 offset1:240
	;; [unrolled: 1-line block ×7, first 2 shown]
	s_waitcnt lgkmcnt(0)
	s_barrier
	buffer_gl0_inv
	ds_load_2addr_b64 v[0:3], v111 offset1:48
	ds_load_2addr_b64 v[4:7], v111 offset0:96 offset1:144
	v_mad_u64_u32 v[20:21], null, s6, v64, 0
	v_mad_u64_u32 v[22:23], null, s4, v110, 0
	s_mul_i32 s6, s5, 0x300
	s_waitcnt lgkmcnt(1)
	v_mul_f32_e32 v8, v96, v1
	v_mul_f32_e32 v9, v96, v0
	s_waitcnt lgkmcnt(0)
	v_mul_f32_e32 v14, v92, v4
	v_mul_f32_e32 v18, v90, v6
	v_fmac_f32_e32 v8, v95, v0
	v_fma_f32 v0, v95, v1, -v9
	v_mul_f32_e32 v1, v94, v3
	s_delay_alu instid0(VALU_DEP_3) | instskip(NEXT) | instid1(VALU_DEP_3)
	v_cvt_f64_f32_e32 v[8:9], v8
	v_cvt_f64_f32_e32 v[10:11], v0
	v_mul_f32_e32 v0, v94, v2
	s_delay_alu instid0(VALU_DEP_4) | instskip(NEXT) | instid1(VALU_DEP_2)
	v_dual_fmac_f32 v1, v93, v2 :: v_dual_mul_f32 v2, v92, v5
	v_fma_f32 v0, v93, v3, -v0
	s_delay_alu instid0(VALU_DEP_2) | instskip(NEXT) | instid1(VALU_DEP_3)
	v_cvt_f64_f32_e32 v[12:13], v1
	v_fmac_f32_e32 v2, v91, v4
	v_fma_f32 v1, v91, v5, -v14
	v_mul_f32_e32 v3, v90, v7
	v_cvt_f64_f32_e32 v[4:5], v0
	v_fma_f32 v0, v89, v7, -v18
	v_cvt_f64_f32_e32 v[14:15], v2
	v_cvt_f64_f32_e32 v[16:17], v1
	v_fmac_f32_e32 v3, v89, v6
	s_delay_alu instid0(VALU_DEP_4) | instskip(NEXT) | instid1(VALU_DEP_2)
	v_cvt_f64_f32_e32 v[18:19], v0
	v_cvt_f64_f32_e32 v[6:7], v3
	ds_load_2addr_b64 v[0:3], v111 offset0:192 offset1:240
	v_mul_f64 v[8:9], v[8:9], s[0:1]
	v_mul_f64 v[10:11], v[10:11], s[0:1]
	s_waitcnt lgkmcnt(0)
	v_mul_f32_e32 v33, v88, v3
	v_mul_f64 v[12:13], v[12:13], s[0:1]
	s_delay_alu instid0(VALU_DEP_2)
	v_fmac_f32_e32 v33, v87, v2
	v_mul_f64 v[24:25], v[4:5], s[0:1]
	v_mul_f32_e32 v4, v84, v1
	v_mul_f32_e32 v5, v84, v0
	v_mul_f64 v[14:15], v[14:15], s[0:1]
	v_mul_f64 v[16:17], v[16:17], s[0:1]
	v_cvt_f64_f32_e32 v[33:34], v33
	v_fmac_f32_e32 v4, v83, v0
	v_mul_f64 v[18:19], v[18:19], s[0:1]
	v_mul_f64 v[26:27], v[6:7], s[0:1]
	v_fma_f32 v6, v83, v1, -v5
	s_delay_alu instid0(VALU_DEP_4) | instskip(SKIP_2) | instid1(VALU_DEP_3)
	v_cvt_f64_f32_e32 v[0:1], v4
	v_mad_u64_u32 v[4:5], null, s7, v64, v[21:22]
	s_mul_hi_u32 s7, s4, 0x300
	v_cvt_f64_f32_e32 v[31:32], v6
	s_add_i32 s7, s7, s6
	s_mul_i32 s6, s4, 0x300
	s_delay_alu instid0(VALU_DEP_2) | instskip(NEXT) | instid1(VALU_DEP_1)
	v_mov_b32_e32 v21, v4
	v_lshlrev_b64 v[20:21], 3, v[20:21]
	v_cvt_f32_f64_e32 v8, v[8:9]
	v_cvt_f32_f64_e32 v9, v[10:11]
	s_delay_alu instid0(VALU_DEP_3) | instskip(NEXT) | instid1(VALU_DEP_4)
	v_add_co_u32 v52, vcc_lo, s2, v20
	v_add_co_ci_u32_e32 v53, vcc_lo, s3, v21, vcc_lo
	v_cvt_f32_f64_e32 v12, v[12:13]
	s_mul_i32 s2, s5, 0x180
	s_mul_hi_u32 s3, s4, 0x180
	v_mad_u64_u32 v[5:6], null, s5, v110, v[23:24]
	v_cvt_f32_f64_e32 v13, v[24:25]
	v_cvt_f32_f64_e32 v14, v[14:15]
	;; [unrolled: 1-line block ×3, first 2 shown]
	s_add_i32 s2, s3, s2
	s_mul_i32 s3, s4, 0x180
	v_cvt_f32_f64_e32 v17, v[18:19]
	v_mov_b32_e32 v23, v5
	v_cvt_f32_f64_e32 v16, v[26:27]
	ds_load_2addr_b64 v[4:7], v30 offset0:32 offset1:80
	v_mul_f64 v[18:19], v[0:1], s[0:1]
	v_mul_f32_e32 v0, v88, v2
	v_lshlrev_b64 v[10:11], 3, v[22:23]
	v_mad_u64_u32 v[24:25], null, s4, v109, 0
	v_mul_f64 v[20:21], v[31:32], s[0:1]
	s_delay_alu instid0(VALU_DEP_4) | instskip(SKIP_3) | instid1(VALU_DEP_4)
	v_fma_f32 v0, v87, v3, -v0
	v_mul_f64 v[22:23], v[33:34], s[0:1]
	v_add_co_u32 v10, vcc_lo, v52, v10
	v_add_co_ci_u32_e32 v11, vcc_lo, v53, v11, vcc_lo
	v_cvt_f64_f32_e32 v[26:27], v0
	s_waitcnt lgkmcnt(0)
	v_mul_f32_e32 v1, v86, v5
	v_mul_f32_e32 v2, v86, v4
	;; [unrolled: 1-line block ×3, first 2 shown]
	s_delay_alu instid0(VALU_DEP_3) | instskip(NEXT) | instid1(VALU_DEP_3)
	v_fmac_f32_e32 v1, v85, v4
	v_fma_f32 v2, v85, v5, -v2
	s_delay_alu instid0(VALU_DEP_3)
	v_fmac_f32_e32 v3, v81, v6
	v_add_co_u32 v4, vcc_lo, v10, s3
	v_add_co_ci_u32_e32 v5, vcc_lo, s2, v11, vcc_lo
	v_cvt_f64_f32_e32 v[31:32], v1
	v_cvt_f64_f32_e32 v[33:34], v2
	;; [unrolled: 1-line block ×3, first 2 shown]
	v_add_co_u32 v37, vcc_lo, v4, s3
	v_add_co_ci_u32_e32 v38, vcc_lo, s2, v5, vcc_lo
	ds_load_2addr_b64 v[0:3], v30 offset0:128 offset1:176
	s_clause 0x1
	global_store_b64 v[10:11], v[8:9], off
	global_store_b64 v[4:5], v[12:13], off
	v_mul_f32_e32 v4, v82, v6
	v_cvt_f32_f64_e32 v12, v[18:19]
	v_cvt_f32_f64_e32 v13, v[20:21]
	s_delay_alu instid0(VALU_DEP_3)
	v_fma_f32 v8, v81, v7, -v4
	v_mad_u64_u32 v[39:40], null, s5, v109, v[25:26]
	v_add_co_u32 v40, vcc_lo, v37, s3
	v_add_co_ci_u32_e32 v41, vcc_lo, s2, v38, vcc_lo
	s_clause 0x1
	global_store_b64 v[37:38], v[14:15], off
	global_store_b64 v[40:41], v[16:17], off
	ds_load_2addr_b64 v[4:7], v29 offset0:96 offset1:144
	v_cvt_f64_f32_e32 v[17:18], v8
	s_waitcnt lgkmcnt(1)
	v_mul_f32_e32 v29, v76, v1
	ds_load_2addr_b64 v[8:11], v28 offset0:64 offset1:112
	v_mul_f64 v[19:20], v[26:27], s[0:1]
	v_mul_f32_e32 v27, v78, v3
	v_mov_b32_e32 v25, v39
	v_fmac_f32_e32 v29, v75, v0
	v_mul_f32_e32 v0, v76, v0
	v_cvt_f32_f64_e32 v16, v[22:23]
	v_fmac_f32_e32 v27, v77, v2
	v_lshlrev_b64 v[14:15], 3, v[24:25]
	v_mul_f64 v[21:22], v[31:32], s[0:1]
	v_fma_f32 v0, v75, v1, -v0
	v_mul_f32_e32 v1, v78, v2
	v_mul_f64 v[23:24], v[33:34], s[0:1]
	v_mul_f64 v[25:26], v[35:36], s[0:1]
	v_cvt_f64_f32_e32 v[33:34], v27
	v_cvt_f64_f32_e32 v[31:32], v0
	v_fma_f32 v27, v77, v3, -v1
	s_waitcnt lgkmcnt(1)
	v_mul_f32_e32 v2, v80, v4
	v_mul_f32_e32 v35, v80, v5
	;; [unrolled: 1-line block ×3, first 2 shown]
	s_waitcnt lgkmcnt(0)
	v_mul_f32_e32 v39, v66, v9
	v_mul_f32_e32 v42, v66, v8
	v_fma_f32 v36, v79, v5, -v2
	ds_load_2addr_b64 v[0:3], v28 offset0:160 offset1:208
	v_dual_mul_f32 v46, v68, v11 :: v_dual_fmac_f32 v39, v65, v8
	v_fma_f32 v44, v65, v9, -v42
	v_dual_mul_f32 v38, v74, v6 :: v_dual_fmac_f32 v35, v79, v4
	s_delay_alu instid0(VALU_DEP_3)
	v_fmac_f32_e32 v46, v67, v10
	v_mul_f32_e32 v10, v68, v10
	v_cvt_f64_f32_e32 v[42:43], v39
	v_fmac_f32_e32 v37, v73, v6
	v_fma_f32 v38, v73, v7, -v38
	v_cvt_f64_f32_e32 v[29:30], v29
	v_fma_f32 v10, v67, v11, -v10
	v_mul_f64 v[8:9], v[17:18], s[0:1]
	v_cvt_f64_f32_e32 v[4:5], v27
	v_cvt_f64_f32_e32 v[27:28], v35
	;; [unrolled: 1-line block ×6, first 2 shown]
	s_waitcnt lgkmcnt(0)
	v_mul_f32_e32 v18, v70, v0
	v_mul_f32_e32 v17, v70, v1
	;; [unrolled: 1-line block ×4, first 2 shown]
	v_cvt_f64_f32_e32 v[46:47], v46
	v_fma_f32 v11, v69, v1, -v18
	v_fmac_f32_e32 v17, v69, v0
	v_cvt_f64_f32_e32 v[0:1], v10
	v_fmac_f32_e32 v39, v71, v2
	v_fma_f32 v18, v71, v3, -v48
	v_cvt_f64_f32_e32 v[10:11], v11
	v_cvt_f64_f32_e32 v[2:3], v17
	v_cvt_f32_f64_e32 v17, v[19:20]
	v_cvt_f64_f32_e32 v[48:49], v39
	v_cvt_f64_f32_e32 v[50:51], v18
	v_add_co_u32 v18, vcc_lo, v40, s6
	v_mul_f64 v[31:32], v[31:32], s[0:1]
	v_mul_f64 v[33:34], v[33:34], s[0:1]
	v_add_co_ci_u32_e32 v19, vcc_lo, s7, v41, vcc_lo
	v_cvt_f32_f64_e32 v20, v[21:22]
	v_cvt_f32_f64_e32 v21, v[23:24]
	;; [unrolled: 1-line block ×3, first 2 shown]
	v_add_co_u32 v14, vcc_lo, v52, v14
	v_mul_f64 v[39:40], v[42:43], s[0:1]
	v_add_co_ci_u32_e32 v15, vcc_lo, v53, v15, vcc_lo
	v_mul_f64 v[29:30], v[29:30], s[0:1]
	v_add_co_u32 v24, vcc_lo, v18, s3
	v_mul_f64 v[4:5], v[4:5], s[0:1]
	v_mul_f64 v[27:28], v[27:28], s[0:1]
	;; [unrolled: 1-line block ×6, first 2 shown]
	v_cvt_f32_f64_e32 v23, v[8:9]
	global_store_b64 v[14:15], v[12:13], off
	v_mad_u64_u32 v[8:9], null, s4, v107, 0
	v_mul_f64 v[43:44], v[46:47], s[0:1]
	v_add_co_ci_u32_e32 v25, vcc_lo, s2, v19, vcc_lo
	v_mul_f64 v[0:1], v[0:1], s[0:1]
	v_add_co_u32 v12, vcc_lo, v24, s3
	v_mul_f64 v[10:11], v[10:11], s[0:1]
	v_mul_f64 v[2:3], v[2:3], s[0:1]
	global_store_b64 v[18:19], v[16:17], off
	v_mul_f64 v[45:46], v[48:49], s[0:1]
	v_mul_f64 v[47:48], v[50:51], s[0:1]
	v_add_co_ci_u32_e32 v13, vcc_lo, s2, v25, vcc_lo
	v_cvt_f32_f64_e32 v15, v[31:32]
	global_store_b64 v[24:25], v[20:21], off
	global_store_b64 v[12:13], v[22:23], off
	v_cvt_f32_f64_e32 v18, v[39:40]
	v_cvt_f32_f64_e32 v14, v[29:30]
	;; [unrolled: 1-line block ×10, first 2 shown]
	v_mad_u64_u32 v[49:50], null, s5, v107, v[9:10]
	v_cvt_f32_f64_e32 v21, v[0:1]
	v_cvt_f32_f64_e32 v0, v[2:3]
	;; [unrolled: 1-line block ×5, first 2 shown]
	v_mad_u64_u32 v[16:17], null, s4, v108, 0
	v_mov_b32_e32 v9, v49
	s_delay_alu instid0(VALU_DEP_1) | instskip(NEXT) | instid1(VALU_DEP_1)
	v_lshlrev_b64 v[8:9], 3, v[8:9]
	v_add_co_u32 v8, vcc_lo, v52, v8
	s_delay_alu instid0(VALU_DEP_2) | instskip(SKIP_3) | instid1(VALU_DEP_3)
	v_add_co_ci_u32_e32 v9, vcc_lo, v53, v9, vcc_lo
	v_add_co_u32 v12, vcc_lo, v12, s6
	v_add_co_ci_u32_e32 v13, vcc_lo, s7, v13, vcc_lo
	v_mad_u64_u32 v[22:23], null, s5, v108, v[17:18]
	v_add_co_u32 v10, vcc_lo, v12, s3
	s_delay_alu instid0(VALU_DEP_3) | instskip(NEXT) | instid1(VALU_DEP_2)
	v_add_co_ci_u32_e32 v11, vcc_lo, s2, v13, vcc_lo
	v_add_co_u32 v23, vcc_lo, v10, s3
	s_delay_alu instid0(VALU_DEP_2)
	v_add_co_ci_u32_e32 v24, vcc_lo, s2, v11, vcc_lo
	v_mov_b32_e32 v17, v22
	global_store_b64 v[8:9], v[14:15], off
	global_store_b64 v[12:13], v[29:30], off
	;; [unrolled: 1-line block ×4, first 2 shown]
	v_add_co_u32 v4, vcc_lo, v23, s6
	v_add_co_ci_u32_e32 v5, vcc_lo, s7, v24, vcc_lo
	v_lshlrev_b64 v[6:7], 3, v[16:17]
	s_delay_alu instid0(VALU_DEP_3) | instskip(NEXT) | instid1(VALU_DEP_3)
	v_add_co_u32 v8, vcc_lo, v4, s3
	v_add_co_ci_u32_e32 v9, vcc_lo, s2, v5, vcc_lo
	s_delay_alu instid0(VALU_DEP_3) | instskip(NEXT) | instid1(VALU_DEP_4)
	v_add_co_u32 v6, vcc_lo, v52, v6
	v_add_co_ci_u32_e32 v7, vcc_lo, v53, v7, vcc_lo
	s_delay_alu instid0(VALU_DEP_4) | instskip(NEXT) | instid1(VALU_DEP_4)
	v_add_co_u32 v10, vcc_lo, v8, s3
	v_add_co_ci_u32_e32 v11, vcc_lo, s2, v9, vcc_lo
	global_store_b64 v[6:7], v[18:19], off
	global_store_b64 v[4:5], v[20:21], off
	;; [unrolled: 1-line block ×4, first 2 shown]
.LBB0_10:
	s_nop 0
	s_sendmsg sendmsg(MSG_DEALLOC_VGPRS)
	s_endpgm
	.section	.rodata,"a",@progbits
	.p2align	6, 0x0
	.amdhsa_kernel bluestein_single_back_len768_dim1_sp_op_CI_CI
		.amdhsa_group_segment_fixed_size 6144
		.amdhsa_private_segment_fixed_size 0
		.amdhsa_kernarg_size 104
		.amdhsa_user_sgpr_count 15
		.amdhsa_user_sgpr_dispatch_ptr 0
		.amdhsa_user_sgpr_queue_ptr 0
		.amdhsa_user_sgpr_kernarg_segment_ptr 1
		.amdhsa_user_sgpr_dispatch_id 0
		.amdhsa_user_sgpr_private_segment_size 0
		.amdhsa_wavefront_size32 1
		.amdhsa_uses_dynamic_stack 0
		.amdhsa_enable_private_segment 0
		.amdhsa_system_sgpr_workgroup_id_x 1
		.amdhsa_system_sgpr_workgroup_id_y 0
		.amdhsa_system_sgpr_workgroup_id_z 0
		.amdhsa_system_sgpr_workgroup_info 0
		.amdhsa_system_vgpr_workitem_id 0
		.amdhsa_next_free_vgpr 160
		.amdhsa_next_free_sgpr 20
		.amdhsa_reserve_vcc 1
		.amdhsa_float_round_mode_32 0
		.amdhsa_float_round_mode_16_64 0
		.amdhsa_float_denorm_mode_32 3
		.amdhsa_float_denorm_mode_16_64 3
		.amdhsa_dx10_clamp 1
		.amdhsa_ieee_mode 1
		.amdhsa_fp16_overflow 0
		.amdhsa_workgroup_processor_mode 1
		.amdhsa_memory_ordered 1
		.amdhsa_forward_progress 0
		.amdhsa_shared_vgpr_count 0
		.amdhsa_exception_fp_ieee_invalid_op 0
		.amdhsa_exception_fp_denorm_src 0
		.amdhsa_exception_fp_ieee_div_zero 0
		.amdhsa_exception_fp_ieee_overflow 0
		.amdhsa_exception_fp_ieee_underflow 0
		.amdhsa_exception_fp_ieee_inexact 0
		.amdhsa_exception_int_div_zero 0
	.end_amdhsa_kernel
	.text
.Lfunc_end0:
	.size	bluestein_single_back_len768_dim1_sp_op_CI_CI, .Lfunc_end0-bluestein_single_back_len768_dim1_sp_op_CI_CI
                                        ; -- End function
	.section	.AMDGPU.csdata,"",@progbits
; Kernel info:
; codeLenInByte = 11524
; NumSgprs: 22
; NumVgprs: 160
; ScratchSize: 0
; MemoryBound: 0
; FloatMode: 240
; IeeeMode: 1
; LDSByteSize: 6144 bytes/workgroup (compile time only)
; SGPRBlocks: 2
; VGPRBlocks: 19
; NumSGPRsForWavesPerEU: 22
; NumVGPRsForWavesPerEU: 160
; Occupancy: 9
; WaveLimiterHint : 1
; COMPUTE_PGM_RSRC2:SCRATCH_EN: 0
; COMPUTE_PGM_RSRC2:USER_SGPR: 15
; COMPUTE_PGM_RSRC2:TRAP_HANDLER: 0
; COMPUTE_PGM_RSRC2:TGID_X_EN: 1
; COMPUTE_PGM_RSRC2:TGID_Y_EN: 0
; COMPUTE_PGM_RSRC2:TGID_Z_EN: 0
; COMPUTE_PGM_RSRC2:TIDIG_COMP_CNT: 0
	.text
	.p2alignl 7, 3214868480
	.fill 96, 4, 3214868480
	.type	__hip_cuid_a02c78033f6d43fa,@object ; @__hip_cuid_a02c78033f6d43fa
	.section	.bss,"aw",@nobits
	.globl	__hip_cuid_a02c78033f6d43fa
__hip_cuid_a02c78033f6d43fa:
	.byte	0                               ; 0x0
	.size	__hip_cuid_a02c78033f6d43fa, 1

	.ident	"AMD clang version 19.0.0git (https://github.com/RadeonOpenCompute/llvm-project roc-6.4.0 25133 c7fe45cf4b819c5991fe208aaa96edf142730f1d)"
	.section	".note.GNU-stack","",@progbits
	.addrsig
	.addrsig_sym __hip_cuid_a02c78033f6d43fa
	.amdgpu_metadata
---
amdhsa.kernels:
  - .args:
      - .actual_access:  read_only
        .address_space:  global
        .offset:         0
        .size:           8
        .value_kind:     global_buffer
      - .actual_access:  read_only
        .address_space:  global
        .offset:         8
        .size:           8
        .value_kind:     global_buffer
      - .actual_access:  read_only
        .address_space:  global
        .offset:         16
        .size:           8
        .value_kind:     global_buffer
      - .actual_access:  read_only
        .address_space:  global
        .offset:         24
        .size:           8
        .value_kind:     global_buffer
      - .actual_access:  read_only
        .address_space:  global
        .offset:         32
        .size:           8
        .value_kind:     global_buffer
      - .offset:         40
        .size:           8
        .value_kind:     by_value
      - .address_space:  global
        .offset:         48
        .size:           8
        .value_kind:     global_buffer
      - .address_space:  global
        .offset:         56
        .size:           8
        .value_kind:     global_buffer
      - .address_space:  global
        .offset:         64
        .size:           8
        .value_kind:     global_buffer
      - .address_space:  global
        .offset:         72
        .size:           8
        .value_kind:     global_buffer
      - .offset:         80
        .size:           4
        .value_kind:     by_value
      - .address_space:  global
        .offset:         88
        .size:           8
        .value_kind:     global_buffer
      - .address_space:  global
        .offset:         96
        .size:           8
        .value_kind:     global_buffer
    .group_segment_fixed_size: 6144
    .kernarg_segment_align: 8
    .kernarg_segment_size: 104
    .language:       OpenCL C
    .language_version:
      - 2
      - 0
    .max_flat_workgroup_size: 48
    .name:           bluestein_single_back_len768_dim1_sp_op_CI_CI
    .private_segment_fixed_size: 0
    .sgpr_count:     22
    .sgpr_spill_count: 0
    .symbol:         bluestein_single_back_len768_dim1_sp_op_CI_CI.kd
    .uniform_work_group_size: 1
    .uses_dynamic_stack: false
    .vgpr_count:     160
    .vgpr_spill_count: 0
    .wavefront_size: 32
    .workgroup_processor_mode: 1
amdhsa.target:   amdgcn-amd-amdhsa--gfx1100
amdhsa.version:
  - 1
  - 2
...

	.end_amdgpu_metadata
